;; amdgpu-corpus repo=ROCm/rocSPARSE kind=compiled arch=gfx950 opt=O3
	.amdgcn_target "amdgcn-amd-amdhsa--gfx950"
	.amdhsa_code_object_version 6
	.section	.text._ZN9rocsparseL23nnz_total_device_kernelEiPKiPi,"axG",@progbits,_ZN9rocsparseL23nnz_total_device_kernelEiPKiPi,comdat
	.globl	_ZN9rocsparseL23nnz_total_device_kernelEiPKiPi ; -- Begin function _ZN9rocsparseL23nnz_total_device_kernelEiPKiPi
	.p2align	8
	.type	_ZN9rocsparseL23nnz_total_device_kernelEiPKiPi,@function
_ZN9rocsparseL23nnz_total_device_kernelEiPKiPi: ; @_ZN9rocsparseL23nnz_total_device_kernelEiPKiPi
; %bb.0:
	s_cmp_lg_u32 0, 0
	s_cbranch_scc0 .LBB0_2
; %bb.1:
	s_endpgm
.LBB0_2:
	s_load_dword s2, s[0:1], 0x0
	s_load_dwordx4 s[4:7], s[0:1], 0x8
	v_mov_b32_e32 v0, 0
	s_waitcnt lgkmcnt(0)
	s_ashr_i32 s3, s2, 31
	s_lshl_b64 s[0:1], s[2:3], 2
	s_add_u32 s0, s4, s0
	s_addc_u32 s1, s5, s1
	s_load_dword s2, s[0:1], 0x0
	s_load_dword s3, s[4:5], 0x0
	s_waitcnt lgkmcnt(0)
	s_sub_i32 s0, s2, s3
	v_mov_b32_e32 v1, s0
	global_store_dword v0, v1, s[6:7]
	s_endpgm
	.section	.rodata,"a",@progbits
	.p2align	6, 0x0
	.amdhsa_kernel _ZN9rocsparseL23nnz_total_device_kernelEiPKiPi
		.amdhsa_group_segment_fixed_size 0
		.amdhsa_private_segment_fixed_size 0
		.amdhsa_kernarg_size 24
		.amdhsa_user_sgpr_count 2
		.amdhsa_user_sgpr_dispatch_ptr 0
		.amdhsa_user_sgpr_queue_ptr 0
		.amdhsa_user_sgpr_kernarg_segment_ptr 1
		.amdhsa_user_sgpr_dispatch_id 0
		.amdhsa_user_sgpr_kernarg_preload_length 0
		.amdhsa_user_sgpr_kernarg_preload_offset 0
		.amdhsa_user_sgpr_private_segment_size 0
		.amdhsa_uses_dynamic_stack 0
		.amdhsa_enable_private_segment 0
		.amdhsa_system_sgpr_workgroup_id_x 1
		.amdhsa_system_sgpr_workgroup_id_y 0
		.amdhsa_system_sgpr_workgroup_id_z 0
		.amdhsa_system_sgpr_workgroup_info 0
		.amdhsa_system_vgpr_workitem_id 0
		.amdhsa_next_free_vgpr 2
		.amdhsa_next_free_sgpr 8
		.amdhsa_accum_offset 4
		.amdhsa_reserve_vcc 0
		.amdhsa_float_round_mode_32 0
		.amdhsa_float_round_mode_16_64 0
		.amdhsa_float_denorm_mode_32 3
		.amdhsa_float_denorm_mode_16_64 3
		.amdhsa_dx10_clamp 1
		.amdhsa_ieee_mode 1
		.amdhsa_fp16_overflow 0
		.amdhsa_tg_split 0
		.amdhsa_exception_fp_ieee_invalid_op 0
		.amdhsa_exception_fp_denorm_src 0
		.amdhsa_exception_fp_ieee_div_zero 0
		.amdhsa_exception_fp_ieee_overflow 0
		.amdhsa_exception_fp_ieee_underflow 0
		.amdhsa_exception_fp_ieee_inexact 0
		.amdhsa_exception_int_div_zero 0
	.end_amdhsa_kernel
	.section	.text._ZN9rocsparseL23nnz_total_device_kernelEiPKiPi,"axG",@progbits,_ZN9rocsparseL23nnz_total_device_kernelEiPKiPi,comdat
.Lfunc_end0:
	.size	_ZN9rocsparseL23nnz_total_device_kernelEiPKiPi, .Lfunc_end0-_ZN9rocsparseL23nnz_total_device_kernelEiPKiPi
                                        ; -- End function
	.set _ZN9rocsparseL23nnz_total_device_kernelEiPKiPi.num_vgpr, 2
	.set _ZN9rocsparseL23nnz_total_device_kernelEiPKiPi.num_agpr, 0
	.set _ZN9rocsparseL23nnz_total_device_kernelEiPKiPi.numbered_sgpr, 8
	.set _ZN9rocsparseL23nnz_total_device_kernelEiPKiPi.num_named_barrier, 0
	.set _ZN9rocsparseL23nnz_total_device_kernelEiPKiPi.private_seg_size, 0
	.set _ZN9rocsparseL23nnz_total_device_kernelEiPKiPi.uses_vcc, 0
	.set _ZN9rocsparseL23nnz_total_device_kernelEiPKiPi.uses_flat_scratch, 0
	.set _ZN9rocsparseL23nnz_total_device_kernelEiPKiPi.has_dyn_sized_stack, 0
	.set _ZN9rocsparseL23nnz_total_device_kernelEiPKiPi.has_recursion, 0
	.set _ZN9rocsparseL23nnz_total_device_kernelEiPKiPi.has_indirect_call, 0
	.section	.AMDGPU.csdata,"",@progbits
; Kernel info:
; codeLenInByte = 92
; TotalNumSgprs: 14
; NumVgprs: 2
; NumAgprs: 0
; TotalNumVgprs: 2
; ScratchSize: 0
; MemoryBound: 0
; FloatMode: 240
; IeeeMode: 1
; LDSByteSize: 0 bytes/workgroup (compile time only)
; SGPRBlocks: 1
; VGPRBlocks: 0
; NumSGPRsForWavesPerEU: 14
; NumVGPRsForWavesPerEU: 2
; AccumOffset: 4
; Occupancy: 8
; WaveLimiterHint : 0
; COMPUTE_PGM_RSRC2:SCRATCH_EN: 0
; COMPUTE_PGM_RSRC2:USER_SGPR: 2
; COMPUTE_PGM_RSRC2:TRAP_HANDLER: 0
; COMPUTE_PGM_RSRC2:TGID_X_EN: 1
; COMPUTE_PGM_RSRC2:TGID_Y_EN: 0
; COMPUTE_PGM_RSRC2:TGID_Z_EN: 0
; COMPUTE_PGM_RSRC2:TIDIG_COMP_CNT: 0
; COMPUTE_PGM_RSRC3_GFX90A:ACCUM_OFFSET: 0
; COMPUTE_PGM_RSRC3_GFX90A:TG_SPLIT: 0
	.section	.text._ZN9rocsparseL26prune_dense2csr_nnz_kernelILi64ELi16EfEEviiPKT1_lNS_24const_host_device_scalarIS1_EEPib,"axG",@progbits,_ZN9rocsparseL26prune_dense2csr_nnz_kernelILi64ELi16EfEEviiPKT1_lNS_24const_host_device_scalarIS1_EEPib,comdat
	.globl	_ZN9rocsparseL26prune_dense2csr_nnz_kernelILi64ELi16EfEEviiPKT1_lNS_24const_host_device_scalarIS1_EEPib ; -- Begin function _ZN9rocsparseL26prune_dense2csr_nnz_kernelILi64ELi16EfEEviiPKT1_lNS_24const_host_device_scalarIS1_EEPib
	.p2align	8
	.type	_ZN9rocsparseL26prune_dense2csr_nnz_kernelILi64ELi16EfEEviiPKT1_lNS_24const_host_device_scalarIS1_EEPib,@function
_ZN9rocsparseL26prune_dense2csr_nnz_kernelILi64ELi16EfEEviiPKT1_lNS_24const_host_device_scalarIS1_EEPib: ; @_ZN9rocsparseL26prune_dense2csr_nnz_kernelILi64ELi16EfEEviiPKT1_lNS_24const_host_device_scalarIS1_EEPib
; %bb.0:
	s_load_dword s3, s[0:1], 0x28
	s_load_dwordx2 s[16:17], s[0:1], 0x8
	s_load_dwordx4 s[8:11], s[0:1], 0x10
	s_waitcnt lgkmcnt(0)
	s_bitcmp1_b32 s3, 0
	s_cselect_b64 s[4:5], -1, 0
	s_and_b64 vcc, exec, s[4:5]
	s_cbranch_vccnz .LBB1_2
; %bb.1:
	s_load_dword s10, s[10:11], 0x0
.LBB1_2:
	s_nop 0
	s_load_dword s3, s[0:1], 0x3c
	s_load_dwordx2 s[12:13], s[0:1], 0x20
	s_load_dwordx2 s[14:15], s[0:1], 0x0
	v_and_b32_e32 v1, 0x3ff, v0
	v_bfe_u32 v0, v0, 10, 10
	s_waitcnt lgkmcnt(0)
	s_and_b32 s0, s3, 0xffff
	v_mad_u32_u24 v24, v0, s0, v1
	s_ashr_i32 s0, s15, 31
	s_lshr_b32 s0, s0, 26
	v_and_b32_e32 v25, 63, v24
	s_lshl_b32 s11, s2, 8
	s_add_i32 s26, s15, s0
	v_lshrrev_b32_e32 v0, 4, v24
	v_or_b32_e32 v4, s11, v25
	s_andn2_b32 s26, s26, 63
	v_and_b32_e32 v26, 0x7ffffc, v0
	v_mov_b32_e32 v0, 0
	v_cmp_gt_i32_e32 vcc, s26, v26
	v_mov_b32_e32 v1, v0
	v_mov_b32_e32 v2, v0
	;; [unrolled: 1-line block ×3, first 2 shown]
	v_or_b32_e32 v27, 64, v4
	s_and_saveexec_b64 s[18:19], vcc
	s_cbranch_execz .LBB1_14
; %bb.3:
	v_or_b32_e32 v1, 0x80, v4
	v_cmp_gt_i32_e64 s[2:3], s14, v1
	v_or_b32_e32 v1, 0xc0, v4
	v_cmp_gt_i32_e64 s[4:5], s14, v1
	v_lshrrev_b32_e32 v1, 6, v24
	v_add_u32_e32 v2, s11, v25
	v_lshlrev_b32_e32 v5, 2, v1
	v_ashrrev_i32_e32 v3, 31, v2
	v_or_b32_e32 v9, 2, v5
	v_lshlrev_b64 v[6:7], 2, v[2:3]
	v_mad_u64_u32 v[2:3], s[6:7], s8, v9, 0
	v_mov_b32_e32 v8, v3
	v_mad_u64_u32 v[8:9], s[6:7], s9, v9, v[8:9]
	v_mov_b32_e32 v3, v8
	v_or_b32_e32 v11, 3, v5
	v_lshl_add_u64 v[8:9], v[2:3], 2, s[16:17]
	v_mad_u64_u32 v[2:3], s[6:7], s8, v11, 0
	v_mov_b32_e32 v10, v3
	v_mad_u64_u32 v[10:11], s[6:7], s9, v11, v[10:11]
	v_mov_b32_e32 v3, v10
	v_lshl_add_u64 v[10:11], v[2:3], 2, s[16:17]
	v_mad_u64_u32 v[2:3], s[6:7], s8, v1, 0
	v_mov_b32_e32 v12, v3
	v_mad_u64_u32 v[12:13], s[6:7], s9, v1, v[12:13]
	v_mov_b32_e32 v3, v12
	v_lshl_add_u64 v[12:13], v[2:3], 4, s[16:17]
	v_mov_b64_e32 v[2:3], s[8:9]
	v_mad_u64_u32 v[2:3], s[6:7], s8, v5, v[2:3]
	v_mov_b32_e32 v14, v3
	v_mad_u64_u32 v[14:15], s[6:7], s9, v5, v[14:15]
	v_mov_b32_e32 v3, v14
	v_cmp_gt_i32_e32 vcc, s14, v4
	v_cmp_gt_i32_e64 s[0:1], s14, v27
	s_lshl_b64 s[20:21], s[8:9], 8
	v_lshl_add_u64 v[14:15], v[2:3], 2, s[16:17]
	v_mov_b32_e32 v1, v0
	v_mov_b32_e32 v2, v0
	;; [unrolled: 1-line block ×3, first 2 shown]
	s_mov_b64 s[22:23], 0
	s_branch .LBB1_5
.LBB1_4:                                ;   in Loop: Header=BB1_5 Depth=1
	s_or_b64 exec, exec, s[24:25]
	v_add_u32_e32 v26, 64, v26
	v_cmp_le_i32_e64 s[6:7], s26, v26
	v_lshl_add_u64 v[8:9], v[8:9], 0, s[20:21]
	v_lshl_add_u64 v[10:11], v[10:11], 0, s[20:21]
	;; [unrolled: 1-line block ×3, first 2 shown]
	s_or_b64 s[22:23], s[6:7], s[22:23]
	v_lshl_add_u64 v[14:15], v[14:15], 0, s[20:21]
	s_andn2_b64 exec, exec, s[22:23]
	s_cbranch_execz .LBB1_13
.LBB1_5:                                ; =>This Inner Loop Header: Depth=1
	v_lshl_add_u64 v[20:21], v[12:13], 0, v[6:7]
	v_lshl_add_u64 v[16:17], v[14:15], 0, v[6:7]
	;; [unrolled: 1-line block ×4, first 2 shown]
	s_and_saveexec_b64 s[24:25], vcc
	s_cbranch_execnz .LBB1_9
; %bb.6:                                ;   in Loop: Header=BB1_5 Depth=1
	s_or_b64 exec, exec, s[24:25]
	s_and_saveexec_b64 s[24:25], s[0:1]
	s_cbranch_execnz .LBB1_10
.LBB1_7:                                ;   in Loop: Header=BB1_5 Depth=1
	s_or_b64 exec, exec, s[24:25]
	s_and_saveexec_b64 s[24:25], s[2:3]
	s_cbranch_execnz .LBB1_11
.LBB1_8:                                ;   in Loop: Header=BB1_5 Depth=1
	s_or_b64 exec, exec, s[24:25]
	s_and_saveexec_b64 s[24:25], s[4:5]
	s_cbranch_execz .LBB1_4
	s_branch .LBB1_12
.LBB1_9:                                ;   in Loop: Header=BB1_5 Depth=1
	global_load_dword v5, v[20:21], off
	global_load_dword v28, v[18:19], off
	global_load_dword v29, v[16:17], off
	global_load_dword v30, v[22:23], off
	s_waitcnt vmcnt(3)
	v_cmp_gt_f32_e64 s[6:7], |v5|, s10
	s_nop 1
	v_cndmask_b32_e64 v5, 0, 1, s[6:7]
	s_waitcnt vmcnt(2)
	v_cmp_gt_f32_e64 s[6:7], |v28|, s10
	s_nop 1
	v_cndmask_b32_e64 v28, 0, 1, s[6:7]
	s_waitcnt vmcnt(1)
	v_cmp_gt_f32_e64 s[6:7], |v29|, s10
	s_nop 1
	v_addc_co_u32_e64 v0, s[6:7], v0, v5, s[6:7]
	s_waitcnt vmcnt(0)
	v_cmp_gt_f32_e64 s[6:7], |v30|, s10
	s_nop 1
	v_addc_co_u32_e64 v0, s[6:7], v0, v28, s[6:7]
	s_or_b64 exec, exec, s[24:25]
	s_and_saveexec_b64 s[24:25], s[0:1]
	s_cbranch_execz .LBB1_7
.LBB1_10:                               ;   in Loop: Header=BB1_5 Depth=1
	global_load_dword v5, v[20:21], off offset:256
	global_load_dword v28, v[18:19], off offset:256
	;; [unrolled: 1-line block ×4, first 2 shown]
	s_waitcnt vmcnt(3)
	v_cmp_gt_f32_e64 s[6:7], |v5|, s10
	s_nop 1
	v_cndmask_b32_e64 v5, 0, 1, s[6:7]
	s_waitcnt vmcnt(2)
	v_cmp_gt_f32_e64 s[6:7], |v28|, s10
	s_nop 1
	v_cndmask_b32_e64 v28, 0, 1, s[6:7]
	s_waitcnt vmcnt(1)
	v_cmp_gt_f32_e64 s[6:7], |v29|, s10
	s_nop 1
	v_addc_co_u32_e64 v1, s[6:7], v1, v5, s[6:7]
	s_waitcnt vmcnt(0)
	v_cmp_gt_f32_e64 s[6:7], |v30|, s10
	s_nop 1
	v_addc_co_u32_e64 v1, s[6:7], v1, v28, s[6:7]
	s_or_b64 exec, exec, s[24:25]
	s_and_saveexec_b64 s[24:25], s[2:3]
	s_cbranch_execz .LBB1_8
.LBB1_11:                               ;   in Loop: Header=BB1_5 Depth=1
	global_load_dword v5, v[20:21], off offset:512
	global_load_dword v28, v[18:19], off offset:512
	;; [unrolled: 1-line block ×4, first 2 shown]
	s_waitcnt vmcnt(3)
	v_cmp_gt_f32_e64 s[6:7], |v5|, s10
	s_nop 1
	v_cndmask_b32_e64 v5, 0, 1, s[6:7]
	s_waitcnt vmcnt(2)
	v_cmp_gt_f32_e64 s[6:7], |v28|, s10
	s_nop 1
	v_cndmask_b32_e64 v28, 0, 1, s[6:7]
	s_waitcnt vmcnt(1)
	v_cmp_gt_f32_e64 s[6:7], |v29|, s10
	s_nop 1
	v_addc_co_u32_e64 v2, s[6:7], v2, v5, s[6:7]
	s_waitcnt vmcnt(0)
	v_cmp_gt_f32_e64 s[6:7], |v30|, s10
	s_nop 1
	v_addc_co_u32_e64 v2, s[6:7], v2, v28, s[6:7]
	s_or_b64 exec, exec, s[24:25]
	s_and_saveexec_b64 s[24:25], s[4:5]
	s_cbranch_execz .LBB1_4
.LBB1_12:                               ;   in Loop: Header=BB1_5 Depth=1
	global_load_dword v5, v[20:21], off offset:768
	global_load_dword v28, v[18:19], off offset:768
	;; [unrolled: 1-line block ×4, first 2 shown]
	s_waitcnt vmcnt(3)
	v_cmp_gt_f32_e64 s[6:7], |v5|, s10
	s_nop 1
	v_cndmask_b32_e64 v5, 0, 1, s[6:7]
	s_waitcnt vmcnt(2)
	v_cmp_gt_f32_e64 s[6:7], |v28|, s10
	s_nop 1
	v_cndmask_b32_e64 v16, 0, 1, s[6:7]
	s_waitcnt vmcnt(1)
	v_cmp_gt_f32_e64 s[6:7], |v29|, s10
	s_nop 1
	v_addc_co_u32_e64 v3, s[6:7], v3, v5, s[6:7]
	s_waitcnt vmcnt(0)
	v_cmp_gt_f32_e64 s[6:7], |v30|, s10
	s_nop 1
	v_addc_co_u32_e64 v3, s[6:7], v3, v16, s[6:7]
	s_branch .LBB1_4
.LBB1_13:
	s_or_b64 exec, exec, s[22:23]
.LBB1_14:
	s_or_b64 exec, exec, s[18:19]
	s_sub_i32 s0, s15, s26
	s_cmp_lt_i32 s0, 1
	s_cbranch_scc1 .LBB1_56
; %bb.15:
	v_cmp_gt_i32_e32 vcc, s14, v4
	v_ashrrev_i32_e32 v5, 31, v4
	s_and_saveexec_b64 s[0:1], vcc
	s_cbranch_execz .LBB1_25
; %bb.16:
	v_lshl_add_u64 v[6:7], v[4:5], 2, s[16:17]
	v_cmp_gt_i32_e32 vcc, s15, v26
	s_and_saveexec_b64 s[2:3], vcc
	s_cbranch_execz .LBB1_18
; %bb.17:
	v_mad_u64_u32 v[8:9], s[4:5], s8, v26, 0
	v_mov_b32_e32 v10, v9
	v_mad_u64_u32 v[10:11], s[4:5], s9, v26, v[10:11]
	v_mov_b32_e32 v9, v10
	v_lshl_add_u64 v[8:9], v[8:9], 2, v[6:7]
	global_load_dword v8, v[8:9], off
	s_waitcnt vmcnt(0)
	v_cmp_gt_f32_e64 vcc, |v8|, s10
	s_nop 1
	v_addc_co_u32_e32 v0, vcc, 0, v0, vcc
.LBB1_18:
	s_or_b64 exec, exec, s[2:3]
	v_or_b32_e32 v8, 1, v26
	v_cmp_gt_i32_e32 vcc, s15, v8
	s_and_saveexec_b64 s[2:3], vcc
	s_cbranch_execz .LBB1_20
; %bb.19:
	v_mad_u64_u32 v[10:11], s[4:5], s8, v8, 0
	v_mov_b32_e32 v12, v11
	v_mad_u64_u32 v[8:9], s[4:5], s9, v8, v[12:13]
	v_mov_b32_e32 v11, v8
	v_lshl_add_u64 v[8:9], v[10:11], 2, v[6:7]
	global_load_dword v8, v[8:9], off
	s_waitcnt vmcnt(0)
	v_cmp_gt_f32_e64 vcc, |v8|, s10
	s_nop 1
	v_addc_co_u32_e32 v0, vcc, 0, v0, vcc
.LBB1_20:
	s_or_b64 exec, exec, s[2:3]
	v_or_b32_e32 v8, 2, v26
	;; [unrolled: 17-line block ×3, first 2 shown]
	v_cmp_gt_i32_e32 vcc, s15, v8
	s_and_saveexec_b64 s[2:3], vcc
	s_cbranch_execz .LBB1_24
; %bb.23:
	v_mad_u64_u32 v[10:11], s[4:5], s8, v8, 0
	v_mov_b32_e32 v12, v11
	v_mad_u64_u32 v[8:9], s[4:5], s9, v8, v[12:13]
	v_mov_b32_e32 v11, v8
	v_lshl_add_u64 v[6:7], v[10:11], 2, v[6:7]
	global_load_dword v6, v[6:7], off
	s_waitcnt vmcnt(0)
	v_cmp_gt_f32_e64 vcc, |v6|, s10
	s_nop 1
	v_addc_co_u32_e32 v0, vcc, 0, v0, vcc
.LBB1_24:
	s_or_b64 exec, exec, s[2:3]
.LBB1_25:
	s_or_b64 exec, exec, s[0:1]
	v_cmp_gt_i32_e32 vcc, s14, v27
	s_and_saveexec_b64 s[0:1], vcc
	s_cbranch_execz .LBB1_35
; %bb.26:
	v_lshl_add_u64 v[6:7], v[4:5], 2, s[16:17]
	v_cmp_gt_i32_e32 vcc, s15, v26
	s_and_saveexec_b64 s[2:3], vcc
	s_cbranch_execz .LBB1_28
; %bb.27:
	v_mad_u64_u32 v[8:9], s[4:5], s8, v26, 0
	v_mov_b32_e32 v10, v9
	v_mad_u64_u32 v[10:11], s[4:5], s9, v26, v[10:11]
	v_mov_b32_e32 v9, v10
	v_lshl_add_u64 v[8:9], v[8:9], 2, v[6:7]
	global_load_dword v8, v[8:9], off offset:256
	s_waitcnt vmcnt(0)
	v_cmp_gt_f32_e64 vcc, |v8|, s10
	s_nop 1
	v_addc_co_u32_e32 v1, vcc, 0, v1, vcc
.LBB1_28:
	s_or_b64 exec, exec, s[2:3]
	v_or_b32_e32 v8, 1, v26
	v_cmp_gt_i32_e32 vcc, s15, v8
	s_and_saveexec_b64 s[2:3], vcc
	s_cbranch_execz .LBB1_30
; %bb.29:
	v_mad_u64_u32 v[10:11], s[4:5], s8, v8, 0
	v_mov_b32_e32 v12, v11
	v_mad_u64_u32 v[8:9], s[4:5], s9, v8, v[12:13]
	v_mov_b32_e32 v11, v8
	v_lshl_add_u64 v[8:9], v[10:11], 2, v[6:7]
	global_load_dword v8, v[8:9], off offset:256
	s_waitcnt vmcnt(0)
	v_cmp_gt_f32_e64 vcc, |v8|, s10
	s_nop 1
	v_addc_co_u32_e32 v1, vcc, 0, v1, vcc
.LBB1_30:
	s_or_b64 exec, exec, s[2:3]
	v_or_b32_e32 v8, 2, v26
	;; [unrolled: 17-line block ×3, first 2 shown]
	v_cmp_gt_i32_e32 vcc, s15, v8
	s_and_saveexec_b64 s[2:3], vcc
	s_cbranch_execz .LBB1_34
; %bb.33:
	v_mad_u64_u32 v[10:11], s[4:5], s8, v8, 0
	v_mov_b32_e32 v12, v11
	v_mad_u64_u32 v[8:9], s[4:5], s9, v8, v[12:13]
	v_mov_b32_e32 v11, v8
	v_lshl_add_u64 v[6:7], v[10:11], 2, v[6:7]
	global_load_dword v6, v[6:7], off offset:256
	s_waitcnt vmcnt(0)
	v_cmp_gt_f32_e64 vcc, |v6|, s10
	s_nop 1
	v_addc_co_u32_e32 v1, vcc, 0, v1, vcc
.LBB1_34:
	s_or_b64 exec, exec, s[2:3]
.LBB1_35:
	s_or_b64 exec, exec, s[0:1]
	v_or_b32_e32 v6, 0x80, v4
	v_cmp_gt_i32_e32 vcc, s14, v6
	s_and_saveexec_b64 s[0:1], vcc
	s_cbranch_execz .LBB1_45
; %bb.36:
	v_lshl_add_u64 v[6:7], v[4:5], 2, s[16:17]
	v_cmp_gt_i32_e32 vcc, s15, v26
	s_and_saveexec_b64 s[2:3], vcc
	s_cbranch_execz .LBB1_38
; %bb.37:
	v_mad_u64_u32 v[8:9], s[4:5], s8, v26, 0
	v_mov_b32_e32 v10, v9
	v_mad_u64_u32 v[10:11], s[4:5], s9, v26, v[10:11]
	v_mov_b32_e32 v9, v10
	v_lshl_add_u64 v[8:9], v[8:9], 2, v[6:7]
	global_load_dword v8, v[8:9], off offset:512
	s_waitcnt vmcnt(0)
	v_cmp_gt_f32_e64 vcc, |v8|, s10
	s_nop 1
	v_addc_co_u32_e32 v2, vcc, 0, v2, vcc
.LBB1_38:
	s_or_b64 exec, exec, s[2:3]
	v_or_b32_e32 v8, 1, v26
	v_cmp_gt_i32_e32 vcc, s15, v8
	s_and_saveexec_b64 s[2:3], vcc
	s_cbranch_execz .LBB1_40
; %bb.39:
	v_mad_u64_u32 v[10:11], s[4:5], s8, v8, 0
	v_mov_b32_e32 v12, v11
	v_mad_u64_u32 v[8:9], s[4:5], s9, v8, v[12:13]
	v_mov_b32_e32 v11, v8
	v_lshl_add_u64 v[8:9], v[10:11], 2, v[6:7]
	global_load_dword v8, v[8:9], off offset:512
	s_waitcnt vmcnt(0)
	v_cmp_gt_f32_e64 vcc, |v8|, s10
	s_nop 1
	v_addc_co_u32_e32 v2, vcc, 0, v2, vcc
.LBB1_40:
	s_or_b64 exec, exec, s[2:3]
	v_or_b32_e32 v8, 2, v26
	;; [unrolled: 17-line block ×3, first 2 shown]
	v_cmp_gt_i32_e32 vcc, s15, v8
	s_and_saveexec_b64 s[2:3], vcc
	s_cbranch_execz .LBB1_44
; %bb.43:
	v_mad_u64_u32 v[10:11], s[4:5], s8, v8, 0
	v_mov_b32_e32 v12, v11
	v_mad_u64_u32 v[8:9], s[4:5], s9, v8, v[12:13]
	v_mov_b32_e32 v11, v8
	v_lshl_add_u64 v[6:7], v[10:11], 2, v[6:7]
	global_load_dword v6, v[6:7], off offset:512
	s_waitcnt vmcnt(0)
	v_cmp_gt_f32_e64 vcc, |v6|, s10
	s_nop 1
	v_addc_co_u32_e32 v2, vcc, 0, v2, vcc
.LBB1_44:
	s_or_b64 exec, exec, s[2:3]
.LBB1_45:
	s_or_b64 exec, exec, s[0:1]
	v_or_b32_e32 v6, 0xc0, v4
	v_cmp_gt_i32_e32 vcc, s14, v6
	s_and_saveexec_b64 s[0:1], vcc
	s_cbranch_execz .LBB1_55
; %bb.46:
	v_lshl_add_u64 v[4:5], v[4:5], 2, s[16:17]
	v_cmp_gt_i32_e32 vcc, s15, v26
	s_and_saveexec_b64 s[2:3], vcc
	s_cbranch_execz .LBB1_48
; %bb.47:
	v_mad_u64_u32 v[6:7], s[4:5], s8, v26, 0
	v_mov_b32_e32 v8, v7
	v_mad_u64_u32 v[8:9], s[4:5], s9, v26, v[8:9]
	v_mov_b32_e32 v7, v8
	v_lshl_add_u64 v[6:7], v[6:7], 2, v[4:5]
	global_load_dword v6, v[6:7], off offset:768
	s_waitcnt vmcnt(0)
	v_cmp_gt_f32_e64 vcc, |v6|, s10
	s_nop 1
	v_addc_co_u32_e32 v3, vcc, 0, v3, vcc
.LBB1_48:
	s_or_b64 exec, exec, s[2:3]
	v_or_b32_e32 v6, 1, v26
	v_cmp_gt_i32_e32 vcc, s15, v6
	s_and_saveexec_b64 s[2:3], vcc
	s_cbranch_execz .LBB1_50
; %bb.49:
	v_mad_u64_u32 v[8:9], s[4:5], s8, v6, 0
	v_mov_b32_e32 v10, v9
	v_mad_u64_u32 v[6:7], s[4:5], s9, v6, v[10:11]
	v_mov_b32_e32 v9, v6
	v_lshl_add_u64 v[6:7], v[8:9], 2, v[4:5]
	global_load_dword v6, v[6:7], off offset:768
	s_waitcnt vmcnt(0)
	v_cmp_gt_f32_e64 vcc, |v6|, s10
	s_nop 1
	v_addc_co_u32_e32 v3, vcc, 0, v3, vcc
.LBB1_50:
	s_or_b64 exec, exec, s[2:3]
	v_or_b32_e32 v6, 2, v26
	;; [unrolled: 17-line block ×3, first 2 shown]
	v_cmp_gt_i32_e32 vcc, s15, v6
	s_and_saveexec_b64 s[2:3], vcc
	s_cbranch_execz .LBB1_54
; %bb.53:
	v_mad_u64_u32 v[8:9], s[4:5], s8, v6, 0
	v_mov_b32_e32 v10, v9
	v_mad_u64_u32 v[6:7], s[4:5], s9, v6, v[10:11]
	v_mov_b32_e32 v9, v6
	v_lshl_add_u64 v[4:5], v[8:9], 2, v[4:5]
	global_load_dword v4, v[4:5], off offset:768
	s_waitcnt vmcnt(0)
	v_cmp_gt_f32_e64 vcc, |v4|, s10
	s_nop 1
	v_addc_co_u32_e32 v3, vcc, 0, v3, vcc
.LBB1_54:
	s_or_b64 exec, exec, s[2:3]
.LBB1_55:
	s_or_b64 exec, exec, s[0:1]
.LBB1_56:
	v_lshlrev_b32_e32 v4, 4, v24
	v_lshlrev_b32_e32 v5, 2, v25
	s_mov_b32 s0, 0x7ffffc00
	v_and_or_b32 v4, v4, s0, v5
	s_movk_i32 s0, 0x100
	v_cmp_gt_u32_e32 vcc, s0, v24
	ds_write2st64_b32 v4, v0, v1 offset1:1
	ds_write2st64_b32 v4, v2, v3 offset0:2 offset1:3
	s_waitcnt lgkmcnt(0)
	s_barrier
	s_and_saveexec_b64 s[0:1], vcc
	s_cbranch_execz .LBB1_59
; %bb.57:
	v_lshlrev_b32_e32 v1, 2, v24
	ds_read2st64_b32 v[2:3], v1 offset1:4
	ds_read2st64_b32 v[4:5], v1 offset0:8 offset1:12
	ds_read2st64_b32 v[6:7], v1 offset0:16 offset1:20
	;; [unrolled: 1-line block ×3, first 2 shown]
	v_or_b32_e32 v0, s11, v24
	s_waitcnt lgkmcnt(3)
	v_add_u32_e32 v2, v3, v2
	s_waitcnt lgkmcnt(2)
	v_add3_u32 v2, v2, v4, v5
	s_waitcnt lgkmcnt(1)
	v_add3_u32 v12, v2, v6, v7
	ds_read2st64_b32 v[2:3], v1 offset0:32 offset1:36
	ds_read2st64_b32 v[4:5], v1 offset0:40 offset1:44
	;; [unrolled: 1-line block ×4, first 2 shown]
	s_waitcnt lgkmcnt(4)
	v_add3_u32 v8, v12, v8, v9
	s_waitcnt lgkmcnt(3)
	v_add3_u32 v2, v8, v2, v3
	;; [unrolled: 2-line block ×5, first 2 shown]
	v_cmp_gt_i32_e32 vcc, s14, v0
	ds_write_b32 v1, v2
	s_and_b64 exec, exec, vcc
	s_cbranch_execz .LBB1_59
; %bb.58:
	v_ashrrev_i32_e32 v1, 31, v0
	v_lshl_add_u64 v[0:1], v[0:1], 2, s[12:13]
	global_store_dword v[0:1], v2, off
.LBB1_59:
	s_endpgm
	.section	.rodata,"a",@progbits
	.p2align	6, 0x0
	.amdhsa_kernel _ZN9rocsparseL26prune_dense2csr_nnz_kernelILi64ELi16EfEEviiPKT1_lNS_24const_host_device_scalarIS1_EEPib
		.amdhsa_group_segment_fixed_size 16384
		.amdhsa_private_segment_fixed_size 0
		.amdhsa_kernarg_size 304
		.amdhsa_user_sgpr_count 2
		.amdhsa_user_sgpr_dispatch_ptr 0
		.amdhsa_user_sgpr_queue_ptr 0
		.amdhsa_user_sgpr_kernarg_segment_ptr 1
		.amdhsa_user_sgpr_dispatch_id 0
		.amdhsa_user_sgpr_kernarg_preload_length 0
		.amdhsa_user_sgpr_kernarg_preload_offset 0
		.amdhsa_user_sgpr_private_segment_size 0
		.amdhsa_uses_dynamic_stack 0
		.amdhsa_enable_private_segment 0
		.amdhsa_system_sgpr_workgroup_id_x 1
		.amdhsa_system_sgpr_workgroup_id_y 0
		.amdhsa_system_sgpr_workgroup_id_z 0
		.amdhsa_system_sgpr_workgroup_info 0
		.amdhsa_system_vgpr_workitem_id 1
		.amdhsa_next_free_vgpr 31
		.amdhsa_next_free_sgpr 27
		.amdhsa_accum_offset 32
		.amdhsa_reserve_vcc 1
		.amdhsa_float_round_mode_32 0
		.amdhsa_float_round_mode_16_64 0
		.amdhsa_float_denorm_mode_32 3
		.amdhsa_float_denorm_mode_16_64 3
		.amdhsa_dx10_clamp 1
		.amdhsa_ieee_mode 1
		.amdhsa_fp16_overflow 0
		.amdhsa_tg_split 0
		.amdhsa_exception_fp_ieee_invalid_op 0
		.amdhsa_exception_fp_denorm_src 0
		.amdhsa_exception_fp_ieee_div_zero 0
		.amdhsa_exception_fp_ieee_overflow 0
		.amdhsa_exception_fp_ieee_underflow 0
		.amdhsa_exception_fp_ieee_inexact 0
		.amdhsa_exception_int_div_zero 0
	.end_amdhsa_kernel
	.section	.text._ZN9rocsparseL26prune_dense2csr_nnz_kernelILi64ELi16EfEEviiPKT1_lNS_24const_host_device_scalarIS1_EEPib,"axG",@progbits,_ZN9rocsparseL26prune_dense2csr_nnz_kernelILi64ELi16EfEEviiPKT1_lNS_24const_host_device_scalarIS1_EEPib,comdat
.Lfunc_end1:
	.size	_ZN9rocsparseL26prune_dense2csr_nnz_kernelILi64ELi16EfEEviiPKT1_lNS_24const_host_device_scalarIS1_EEPib, .Lfunc_end1-_ZN9rocsparseL26prune_dense2csr_nnz_kernelILi64ELi16EfEEviiPKT1_lNS_24const_host_device_scalarIS1_EEPib
                                        ; -- End function
	.set _ZN9rocsparseL26prune_dense2csr_nnz_kernelILi64ELi16EfEEviiPKT1_lNS_24const_host_device_scalarIS1_EEPib.num_vgpr, 31
	.set _ZN9rocsparseL26prune_dense2csr_nnz_kernelILi64ELi16EfEEviiPKT1_lNS_24const_host_device_scalarIS1_EEPib.num_agpr, 0
	.set _ZN9rocsparseL26prune_dense2csr_nnz_kernelILi64ELi16EfEEviiPKT1_lNS_24const_host_device_scalarIS1_EEPib.numbered_sgpr, 27
	.set _ZN9rocsparseL26prune_dense2csr_nnz_kernelILi64ELi16EfEEviiPKT1_lNS_24const_host_device_scalarIS1_EEPib.num_named_barrier, 0
	.set _ZN9rocsparseL26prune_dense2csr_nnz_kernelILi64ELi16EfEEviiPKT1_lNS_24const_host_device_scalarIS1_EEPib.private_seg_size, 0
	.set _ZN9rocsparseL26prune_dense2csr_nnz_kernelILi64ELi16EfEEviiPKT1_lNS_24const_host_device_scalarIS1_EEPib.uses_vcc, 1
	.set _ZN9rocsparseL26prune_dense2csr_nnz_kernelILi64ELi16EfEEviiPKT1_lNS_24const_host_device_scalarIS1_EEPib.uses_flat_scratch, 0
	.set _ZN9rocsparseL26prune_dense2csr_nnz_kernelILi64ELi16EfEEviiPKT1_lNS_24const_host_device_scalarIS1_EEPib.has_dyn_sized_stack, 0
	.set _ZN9rocsparseL26prune_dense2csr_nnz_kernelILi64ELi16EfEEviiPKT1_lNS_24const_host_device_scalarIS1_EEPib.has_recursion, 0
	.set _ZN9rocsparseL26prune_dense2csr_nnz_kernelILi64ELi16EfEEviiPKT1_lNS_24const_host_device_scalarIS1_EEPib.has_indirect_call, 0
	.section	.AMDGPU.csdata,"",@progbits
; Kernel info:
; codeLenInByte = 2784
; TotalNumSgprs: 33
; NumVgprs: 31
; NumAgprs: 0
; TotalNumVgprs: 31
; ScratchSize: 0
; MemoryBound: 0
; FloatMode: 240
; IeeeMode: 1
; LDSByteSize: 16384 bytes/workgroup (compile time only)
; SGPRBlocks: 4
; VGPRBlocks: 3
; NumSGPRsForWavesPerEU: 33
; NumVGPRsForWavesPerEU: 31
; AccumOffset: 32
; Occupancy: 8
; WaveLimiterHint : 0
; COMPUTE_PGM_RSRC2:SCRATCH_EN: 0
; COMPUTE_PGM_RSRC2:USER_SGPR: 2
; COMPUTE_PGM_RSRC2:TRAP_HANDLER: 0
; COMPUTE_PGM_RSRC2:TGID_X_EN: 1
; COMPUTE_PGM_RSRC2:TGID_Y_EN: 0
; COMPUTE_PGM_RSRC2:TGID_Z_EN: 0
; COMPUTE_PGM_RSRC2:TIDIG_COMP_CNT: 1
; COMPUTE_PGM_RSRC3_GFX90A:ACCUM_OFFSET: 7
; COMPUTE_PGM_RSRC3_GFX90A:TG_SPLIT: 0
	.section	.text._ZN9rocsparseL26prune_dense2csr_nnz_kernelILi64ELi16EdEEviiPKT1_lNS_24const_host_device_scalarIS1_EEPib,"axG",@progbits,_ZN9rocsparseL26prune_dense2csr_nnz_kernelILi64ELi16EdEEviiPKT1_lNS_24const_host_device_scalarIS1_EEPib,comdat
	.globl	_ZN9rocsparseL26prune_dense2csr_nnz_kernelILi64ELi16EdEEviiPKT1_lNS_24const_host_device_scalarIS1_EEPib ; -- Begin function _ZN9rocsparseL26prune_dense2csr_nnz_kernelILi64ELi16EdEEviiPKT1_lNS_24const_host_device_scalarIS1_EEPib
	.p2align	8
	.type	_ZN9rocsparseL26prune_dense2csr_nnz_kernelILi64ELi16EdEEviiPKT1_lNS_24const_host_device_scalarIS1_EEPib,@function
_ZN9rocsparseL26prune_dense2csr_nnz_kernelILi64ELi16EdEEviiPKT1_lNS_24const_host_device_scalarIS1_EEPib: ; @_ZN9rocsparseL26prune_dense2csr_nnz_kernelILi64ELi16EdEEviiPKT1_lNS_24const_host_device_scalarIS1_EEPib
; %bb.0:
	s_load_dword s3, s[0:1], 0x28
	s_load_dwordx4 s[8:11], s[0:1], 0x10
	s_load_dwordx2 s[14:15], s[0:1], 0x8
	s_waitcnt lgkmcnt(0)
	s_bitcmp1_b32 s3, 0
	s_cselect_b64 s[4:5], -1, 0
	s_and_b64 vcc, exec, s[4:5]
	v_mov_b64_e32 v[4:5], s[10:11]
	s_cbranch_vccnz .LBB2_2
; %bb.1:
	v_mov_b64_e32 v[2:3], s[10:11]
	flat_load_dwordx2 v[4:5], v[2:3]
.LBB2_2:
	s_load_dword s3, s[0:1], 0x3c
	s_load_dwordx2 s[10:11], s[0:1], 0x20
	s_load_dwordx2 s[12:13], s[0:1], 0x0
	v_and_b32_e32 v1, 0x3ff, v0
	v_bfe_u32 v0, v0, 10, 10
	s_waitcnt lgkmcnt(0)
	s_and_b32 s0, s3, 0xffff
	v_mad_u32_u24 v26, v0, s0, v1
	s_ashr_i32 s0, s13, 31
	s_lshr_b32 s0, s0, 26
	v_and_b32_e32 v27, 63, v26
	s_lshl_b32 s24, s2, 8
	s_add_i32 s25, s13, s0
	v_lshrrev_b32_e32 v0, 4, v26
	v_or_b32_e32 v6, s24, v27
	s_andn2_b32 s25, s25, 63
	v_and_b32_e32 v28, 0x7ffffc, v0
	v_mov_b32_e32 v0, 0
	v_cmp_gt_i32_e32 vcc, s25, v28
	v_mov_b32_e32 v1, v0
	v_mov_b32_e32 v2, v0
	v_mov_b32_e32 v3, v0
	v_or_b32_e32 v29, 64, v6
	s_and_saveexec_b64 s[16:17], vcc
	s_cbranch_execz .LBB2_14
; %bb.3:
	v_or_b32_e32 v1, 0x80, v6
	v_cmp_gt_i32_e64 s[2:3], s12, v1
	v_or_b32_e32 v1, 0xc0, v6
	v_cmp_gt_i32_e64 s[4:5], s12, v1
	v_lshrrev_b32_e32 v1, 6, v26
	v_add_u32_e32 v2, s24, v27
	v_lshlrev_b32_e32 v7, 2, v1
	v_ashrrev_i32_e32 v3, 31, v2
	v_or_b32_e32 v11, 2, v7
	v_lshlrev_b64 v[8:9], 3, v[2:3]
	v_mad_u64_u32 v[2:3], s[6:7], s8, v11, 0
	v_mov_b32_e32 v10, v3
	v_mad_u64_u32 v[10:11], s[6:7], s9, v11, v[10:11]
	v_mov_b32_e32 v3, v10
	v_or_b32_e32 v13, 3, v7
	v_lshl_add_u64 v[10:11], v[2:3], 3, s[14:15]
	v_mad_u64_u32 v[2:3], s[6:7], s8, v13, 0
	v_mov_b32_e32 v12, v3
	v_mad_u64_u32 v[12:13], s[6:7], s9, v13, v[12:13]
	v_mov_b32_e32 v3, v12
	v_lshl_add_u64 v[12:13], v[2:3], 3, s[14:15]
	v_mad_u64_u32 v[2:3], s[6:7], s8, v1, 0
	v_mov_b32_e32 v14, v3
	v_mad_u64_u32 v[14:15], s[6:7], s9, v1, v[14:15]
	v_mov_b32_e32 v3, v14
	v_lshlrev_b64 v[2:3], 5, v[2:3]
	v_lshl_add_u64 v[14:15], s[14:15], 0, v[2:3]
	v_mov_b64_e32 v[2:3], s[8:9]
	v_mad_u64_u32 v[2:3], s[6:7], s8, v7, v[2:3]
	v_mov_b32_e32 v16, v3
	v_mad_u64_u32 v[16:17], s[6:7], s9, v7, v[16:17]
	v_mov_b32_e32 v3, v16
	v_cmp_gt_i32_e32 vcc, s12, v6
	v_cmp_gt_i32_e64 s[0:1], s12, v29
	s_lshl_b64 s[18:19], s[8:9], 9
	v_lshl_add_u64 v[16:17], v[2:3], 3, s[14:15]
	v_mov_b32_e32 v1, v0
	v_mov_b32_e32 v2, v0
	;; [unrolled: 1-line block ×3, first 2 shown]
	s_mov_b64 s[20:21], 0
	s_branch .LBB2_5
.LBB2_4:                                ;   in Loop: Header=BB2_5 Depth=1
	s_or_b64 exec, exec, s[22:23]
	v_add_u32_e32 v28, 64, v28
	v_cmp_le_i32_e64 s[6:7], s25, v28
	v_lshl_add_u64 v[10:11], v[10:11], 0, s[18:19]
	v_lshl_add_u64 v[12:13], v[12:13], 0, s[18:19]
	;; [unrolled: 1-line block ×3, first 2 shown]
	s_or_b64 s[20:21], s[6:7], s[20:21]
	v_lshl_add_u64 v[16:17], v[16:17], 0, s[18:19]
	s_andn2_b64 exec, exec, s[20:21]
	s_cbranch_execz .LBB2_13
.LBB2_5:                                ; =>This Inner Loop Header: Depth=1
	v_lshl_add_u64 v[20:21], v[14:15], 0, v[8:9]
	v_lshl_add_u64 v[18:19], v[16:17], 0, v[8:9]
	;; [unrolled: 1-line block ×4, first 2 shown]
	s_and_saveexec_b64 s[22:23], vcc
	s_cbranch_execnz .LBB2_9
; %bb.6:                                ;   in Loop: Header=BB2_5 Depth=1
	s_or_b64 exec, exec, s[22:23]
	s_and_saveexec_b64 s[22:23], s[0:1]
	s_cbranch_execnz .LBB2_10
.LBB2_7:                                ;   in Loop: Header=BB2_5 Depth=1
	s_or_b64 exec, exec, s[22:23]
	s_and_saveexec_b64 s[22:23], s[2:3]
	s_cbranch_execnz .LBB2_11
.LBB2_8:                                ;   in Loop: Header=BB2_5 Depth=1
	s_or_b64 exec, exec, s[22:23]
	s_and_saveexec_b64 s[22:23], s[4:5]
	s_cbranch_execz .LBB2_4
	s_branch .LBB2_12
.LBB2_9:                                ;   in Loop: Header=BB2_5 Depth=1
	global_load_dwordx2 v[30:31], v[20:21], off
	global_load_dwordx2 v[32:33], v[24:25], off
	;; [unrolled: 1-line block ×4, first 2 shown]
	s_waitcnt vmcnt(0)
	v_cmp_gt_f64_e64 s[6:7], |v[30:31]|, v[4:5]
	s_nop 1
	v_cndmask_b32_e64 v7, 0, 1, s[6:7]
	v_cmp_gt_f64_e64 s[6:7], |v[32:33]|, v[4:5]
	s_nop 1
	v_cndmask_b32_e64 v30, 0, 1, s[6:7]
	v_cmp_gt_f64_e64 s[6:7], |v[34:35]|, v[4:5]
	s_nop 1
	v_addc_co_u32_e64 v0, s[6:7], v0, v7, s[6:7]
	v_cmp_gt_f64_e64 s[6:7], |v[36:37]|, v[4:5]
	s_nop 1
	v_addc_co_u32_e64 v0, s[6:7], v0, v30, s[6:7]
	s_or_b64 exec, exec, s[22:23]
	s_and_saveexec_b64 s[22:23], s[0:1]
	s_cbranch_execz .LBB2_7
.LBB2_10:                               ;   in Loop: Header=BB2_5 Depth=1
	global_load_dwordx2 v[30:31], v[20:21], off offset:512
	global_load_dwordx2 v[32:33], v[24:25], off offset:512
	;; [unrolled: 1-line block ×4, first 2 shown]
	s_waitcnt vmcnt(0)
	v_cmp_gt_f64_e64 s[6:7], |v[30:31]|, v[4:5]
	s_nop 1
	v_cndmask_b32_e64 v7, 0, 1, s[6:7]
	v_cmp_gt_f64_e64 s[6:7], |v[32:33]|, v[4:5]
	s_nop 1
	v_cndmask_b32_e64 v30, 0, 1, s[6:7]
	v_cmp_gt_f64_e64 s[6:7], |v[34:35]|, v[4:5]
	s_nop 1
	v_addc_co_u32_e64 v1, s[6:7], v1, v7, s[6:7]
	v_cmp_gt_f64_e64 s[6:7], |v[36:37]|, v[4:5]
	s_nop 1
	v_addc_co_u32_e64 v1, s[6:7], v1, v30, s[6:7]
	s_or_b64 exec, exec, s[22:23]
	s_and_saveexec_b64 s[22:23], s[2:3]
	s_cbranch_execz .LBB2_8
.LBB2_11:                               ;   in Loop: Header=BB2_5 Depth=1
	global_load_dwordx2 v[30:31], v[20:21], off offset:1024
	global_load_dwordx2 v[32:33], v[24:25], off offset:1024
	;; [unrolled: 1-line block ×4, first 2 shown]
	s_waitcnt vmcnt(0)
	v_cmp_gt_f64_e64 s[6:7], |v[30:31]|, v[4:5]
	s_nop 1
	v_cndmask_b32_e64 v7, 0, 1, s[6:7]
	v_cmp_gt_f64_e64 s[6:7], |v[32:33]|, v[4:5]
	s_nop 1
	v_cndmask_b32_e64 v30, 0, 1, s[6:7]
	v_cmp_gt_f64_e64 s[6:7], |v[34:35]|, v[4:5]
	s_nop 1
	v_addc_co_u32_e64 v2, s[6:7], v2, v7, s[6:7]
	v_cmp_gt_f64_e64 s[6:7], |v[36:37]|, v[4:5]
	s_nop 1
	v_addc_co_u32_e64 v2, s[6:7], v2, v30, s[6:7]
	s_or_b64 exec, exec, s[22:23]
	s_and_saveexec_b64 s[22:23], s[4:5]
	s_cbranch_execz .LBB2_4
.LBB2_12:                               ;   in Loop: Header=BB2_5 Depth=1
	global_load_dwordx2 v[30:31], v[20:21], off offset:1536
	global_load_dwordx2 v[32:33], v[24:25], off offset:1536
	;; [unrolled: 1-line block ×4, first 2 shown]
	s_waitcnt vmcnt(0)
	v_cmp_gt_f64_e64 s[6:7], |v[30:31]|, v[4:5]
	s_nop 1
	v_cndmask_b32_e64 v7, 0, 1, s[6:7]
	v_cmp_gt_f64_e64 s[6:7], |v[32:33]|, v[4:5]
	s_nop 1
	v_cndmask_b32_e64 v18, 0, 1, s[6:7]
	v_cmp_gt_f64_e64 s[6:7], |v[34:35]|, v[4:5]
	s_nop 1
	v_addc_co_u32_e64 v3, s[6:7], v3, v7, s[6:7]
	v_cmp_gt_f64_e64 s[6:7], |v[36:37]|, v[4:5]
	s_nop 1
	v_addc_co_u32_e64 v3, s[6:7], v3, v18, s[6:7]
	s_branch .LBB2_4
.LBB2_13:
	s_or_b64 exec, exec, s[20:21]
.LBB2_14:
	s_or_b64 exec, exec, s[16:17]
	s_sub_i32 s0, s13, s25
	s_cmp_lt_i32 s0, 1
	s_cbranch_scc1 .LBB2_56
; %bb.15:
	v_cmp_gt_i32_e32 vcc, s12, v6
	v_ashrrev_i32_e32 v7, 31, v6
	s_and_saveexec_b64 s[0:1], vcc
	s_cbranch_execz .LBB2_25
; %bb.16:
	v_lshl_add_u64 v[8:9], v[6:7], 3, s[14:15]
	v_cmp_gt_i32_e32 vcc, s13, v28
	s_and_saveexec_b64 s[2:3], vcc
	s_cbranch_execz .LBB2_18
; %bb.17:
	v_mad_u64_u32 v[10:11], s[4:5], s8, v28, 0
	v_mov_b32_e32 v12, v11
	v_mad_u64_u32 v[12:13], s[4:5], s9, v28, v[12:13]
	v_mov_b32_e32 v11, v12
	v_lshl_add_u64 v[10:11], v[10:11], 3, v[8:9]
	global_load_dwordx2 v[10:11], v[10:11], off
	s_waitcnt vmcnt(0)
	v_cmp_gt_f64_e64 vcc, |v[10:11]|, v[4:5]
	s_nop 1
	v_addc_co_u32_e32 v0, vcc, 0, v0, vcc
.LBB2_18:
	s_or_b64 exec, exec, s[2:3]
	v_or_b32_e32 v10, 1, v28
	v_cmp_gt_i32_e32 vcc, s13, v10
	s_and_saveexec_b64 s[2:3], vcc
	s_cbranch_execz .LBB2_20
; %bb.19:
	v_mad_u64_u32 v[12:13], s[4:5], s8, v10, 0
	v_mov_b32_e32 v14, v13
	v_mad_u64_u32 v[10:11], s[4:5], s9, v10, v[14:15]
	v_mov_b32_e32 v13, v10
	v_lshl_add_u64 v[10:11], v[12:13], 3, v[8:9]
	global_load_dwordx2 v[10:11], v[10:11], off
	s_waitcnt vmcnt(0)
	v_cmp_gt_f64_e64 vcc, |v[10:11]|, v[4:5]
	s_nop 1
	v_addc_co_u32_e32 v0, vcc, 0, v0, vcc
.LBB2_20:
	s_or_b64 exec, exec, s[2:3]
	v_or_b32_e32 v10, 2, v28
	;; [unrolled: 17-line block ×3, first 2 shown]
	v_cmp_gt_i32_e32 vcc, s13, v10
	s_and_saveexec_b64 s[2:3], vcc
	s_cbranch_execz .LBB2_24
; %bb.23:
	v_mad_u64_u32 v[12:13], s[4:5], s8, v10, 0
	v_mov_b32_e32 v14, v13
	v_mad_u64_u32 v[10:11], s[4:5], s9, v10, v[14:15]
	v_mov_b32_e32 v13, v10
	v_lshl_add_u64 v[8:9], v[12:13], 3, v[8:9]
	global_load_dwordx2 v[8:9], v[8:9], off
	s_waitcnt vmcnt(0)
	v_cmp_gt_f64_e64 vcc, |v[8:9]|, v[4:5]
	s_nop 1
	v_addc_co_u32_e32 v0, vcc, 0, v0, vcc
.LBB2_24:
	s_or_b64 exec, exec, s[2:3]
.LBB2_25:
	s_or_b64 exec, exec, s[0:1]
	v_cmp_gt_i32_e32 vcc, s12, v29
	s_and_saveexec_b64 s[0:1], vcc
	s_cbranch_execz .LBB2_35
; %bb.26:
	v_lshl_add_u64 v[8:9], v[6:7], 3, s[14:15]
	v_cmp_gt_i32_e32 vcc, s13, v28
	s_and_saveexec_b64 s[2:3], vcc
	s_cbranch_execz .LBB2_28
; %bb.27:
	v_mad_u64_u32 v[10:11], s[4:5], s8, v28, 0
	v_mov_b32_e32 v12, v11
	v_mad_u64_u32 v[12:13], s[4:5], s9, v28, v[12:13]
	v_mov_b32_e32 v11, v12
	v_lshl_add_u64 v[10:11], v[10:11], 3, v[8:9]
	global_load_dwordx2 v[10:11], v[10:11], off offset:512
	s_waitcnt vmcnt(0)
	v_cmp_gt_f64_e64 vcc, |v[10:11]|, v[4:5]
	s_nop 1
	v_addc_co_u32_e32 v1, vcc, 0, v1, vcc
.LBB2_28:
	s_or_b64 exec, exec, s[2:3]
	v_or_b32_e32 v10, 1, v28
	v_cmp_gt_i32_e32 vcc, s13, v10
	s_and_saveexec_b64 s[2:3], vcc
	s_cbranch_execz .LBB2_30
; %bb.29:
	v_mad_u64_u32 v[12:13], s[4:5], s8, v10, 0
	v_mov_b32_e32 v14, v13
	v_mad_u64_u32 v[10:11], s[4:5], s9, v10, v[14:15]
	v_mov_b32_e32 v13, v10
	v_lshl_add_u64 v[10:11], v[12:13], 3, v[8:9]
	global_load_dwordx2 v[10:11], v[10:11], off offset:512
	s_waitcnt vmcnt(0)
	v_cmp_gt_f64_e64 vcc, |v[10:11]|, v[4:5]
	s_nop 1
	v_addc_co_u32_e32 v1, vcc, 0, v1, vcc
.LBB2_30:
	s_or_b64 exec, exec, s[2:3]
	v_or_b32_e32 v10, 2, v28
	;; [unrolled: 17-line block ×3, first 2 shown]
	v_cmp_gt_i32_e32 vcc, s13, v10
	s_and_saveexec_b64 s[2:3], vcc
	s_cbranch_execz .LBB2_34
; %bb.33:
	v_mad_u64_u32 v[12:13], s[4:5], s8, v10, 0
	v_mov_b32_e32 v14, v13
	v_mad_u64_u32 v[10:11], s[4:5], s9, v10, v[14:15]
	v_mov_b32_e32 v13, v10
	v_lshl_add_u64 v[8:9], v[12:13], 3, v[8:9]
	global_load_dwordx2 v[8:9], v[8:9], off offset:512
	s_waitcnt vmcnt(0)
	v_cmp_gt_f64_e64 vcc, |v[8:9]|, v[4:5]
	s_nop 1
	v_addc_co_u32_e32 v1, vcc, 0, v1, vcc
.LBB2_34:
	s_or_b64 exec, exec, s[2:3]
.LBB2_35:
	s_or_b64 exec, exec, s[0:1]
	v_or_b32_e32 v8, 0x80, v6
	v_cmp_gt_i32_e32 vcc, s12, v8
	s_and_saveexec_b64 s[0:1], vcc
	s_cbranch_execz .LBB2_45
; %bb.36:
	v_lshl_add_u64 v[8:9], v[6:7], 3, s[14:15]
	v_cmp_gt_i32_e32 vcc, s13, v28
	s_and_saveexec_b64 s[2:3], vcc
	s_cbranch_execz .LBB2_38
; %bb.37:
	v_mad_u64_u32 v[10:11], s[4:5], s8, v28, 0
	v_mov_b32_e32 v12, v11
	v_mad_u64_u32 v[12:13], s[4:5], s9, v28, v[12:13]
	v_mov_b32_e32 v11, v12
	v_lshl_add_u64 v[10:11], v[10:11], 3, v[8:9]
	global_load_dwordx2 v[10:11], v[10:11], off offset:1024
	s_waitcnt vmcnt(0)
	v_cmp_gt_f64_e64 vcc, |v[10:11]|, v[4:5]
	s_nop 1
	v_addc_co_u32_e32 v2, vcc, 0, v2, vcc
.LBB2_38:
	s_or_b64 exec, exec, s[2:3]
	v_or_b32_e32 v10, 1, v28
	v_cmp_gt_i32_e32 vcc, s13, v10
	s_and_saveexec_b64 s[2:3], vcc
	s_cbranch_execz .LBB2_40
; %bb.39:
	v_mad_u64_u32 v[12:13], s[4:5], s8, v10, 0
	v_mov_b32_e32 v14, v13
	v_mad_u64_u32 v[10:11], s[4:5], s9, v10, v[14:15]
	v_mov_b32_e32 v13, v10
	v_lshl_add_u64 v[10:11], v[12:13], 3, v[8:9]
	global_load_dwordx2 v[10:11], v[10:11], off offset:1024
	s_waitcnt vmcnt(0)
	v_cmp_gt_f64_e64 vcc, |v[10:11]|, v[4:5]
	s_nop 1
	v_addc_co_u32_e32 v2, vcc, 0, v2, vcc
.LBB2_40:
	s_or_b64 exec, exec, s[2:3]
	v_or_b32_e32 v10, 2, v28
	;; [unrolled: 17-line block ×3, first 2 shown]
	v_cmp_gt_i32_e32 vcc, s13, v10
	s_and_saveexec_b64 s[2:3], vcc
	s_cbranch_execz .LBB2_44
; %bb.43:
	v_mad_u64_u32 v[12:13], s[4:5], s8, v10, 0
	v_mov_b32_e32 v14, v13
	v_mad_u64_u32 v[10:11], s[4:5], s9, v10, v[14:15]
	v_mov_b32_e32 v13, v10
	v_lshl_add_u64 v[8:9], v[12:13], 3, v[8:9]
	global_load_dwordx2 v[8:9], v[8:9], off offset:1024
	s_waitcnt vmcnt(0)
	v_cmp_gt_f64_e64 vcc, |v[8:9]|, v[4:5]
	s_nop 1
	v_addc_co_u32_e32 v2, vcc, 0, v2, vcc
.LBB2_44:
	s_or_b64 exec, exec, s[2:3]
.LBB2_45:
	s_or_b64 exec, exec, s[0:1]
	v_or_b32_e32 v8, 0xc0, v6
	v_cmp_gt_i32_e32 vcc, s12, v8
	s_and_saveexec_b64 s[0:1], vcc
	s_cbranch_execz .LBB2_55
; %bb.46:
	v_lshl_add_u64 v[6:7], v[6:7], 3, s[14:15]
	v_cmp_gt_i32_e32 vcc, s13, v28
	s_and_saveexec_b64 s[2:3], vcc
	s_cbranch_execz .LBB2_48
; %bb.47:
	v_mad_u64_u32 v[8:9], s[4:5], s8, v28, 0
	v_mov_b32_e32 v10, v9
	v_mad_u64_u32 v[10:11], s[4:5], s9, v28, v[10:11]
	v_mov_b32_e32 v9, v10
	v_lshl_add_u64 v[8:9], v[8:9], 3, v[6:7]
	global_load_dwordx2 v[8:9], v[8:9], off offset:1536
	s_waitcnt vmcnt(0)
	v_cmp_gt_f64_e64 vcc, |v[8:9]|, v[4:5]
	s_nop 1
	v_addc_co_u32_e32 v3, vcc, 0, v3, vcc
.LBB2_48:
	s_or_b64 exec, exec, s[2:3]
	v_or_b32_e32 v8, 1, v28
	v_cmp_gt_i32_e32 vcc, s13, v8
	s_and_saveexec_b64 s[2:3], vcc
	s_cbranch_execz .LBB2_50
; %bb.49:
	v_mad_u64_u32 v[10:11], s[4:5], s8, v8, 0
	v_mov_b32_e32 v12, v11
	v_mad_u64_u32 v[8:9], s[4:5], s9, v8, v[12:13]
	v_mov_b32_e32 v11, v8
	v_lshl_add_u64 v[8:9], v[10:11], 3, v[6:7]
	global_load_dwordx2 v[8:9], v[8:9], off offset:1536
	s_waitcnt vmcnt(0)
	v_cmp_gt_f64_e64 vcc, |v[8:9]|, v[4:5]
	s_nop 1
	v_addc_co_u32_e32 v3, vcc, 0, v3, vcc
.LBB2_50:
	s_or_b64 exec, exec, s[2:3]
	v_or_b32_e32 v8, 2, v28
	;; [unrolled: 17-line block ×3, first 2 shown]
	v_cmp_gt_i32_e32 vcc, s13, v8
	s_and_saveexec_b64 s[2:3], vcc
	s_cbranch_execz .LBB2_54
; %bb.53:
	v_mad_u64_u32 v[10:11], s[4:5], s8, v8, 0
	v_mov_b32_e32 v12, v11
	v_mad_u64_u32 v[8:9], s[4:5], s9, v8, v[12:13]
	v_mov_b32_e32 v11, v8
	v_lshl_add_u64 v[6:7], v[10:11], 3, v[6:7]
	global_load_dwordx2 v[6:7], v[6:7], off offset:1536
	s_waitcnt vmcnt(0)
	v_cmp_gt_f64_e64 vcc, |v[6:7]|, v[4:5]
	s_nop 1
	v_addc_co_u32_e32 v3, vcc, 0, v3, vcc
.LBB2_54:
	s_or_b64 exec, exec, s[2:3]
.LBB2_55:
	s_or_b64 exec, exec, s[0:1]
.LBB2_56:
	s_waitcnt vmcnt(0)
	v_lshlrev_b32_e32 v4, 4, v26
	v_lshlrev_b32_e32 v5, 2, v27
	s_mov_b32 s0, 0x7ffffc00
	v_and_or_b32 v4, v4, s0, v5
	s_movk_i32 s0, 0x100
	v_cmp_gt_u32_e32 vcc, s0, v26
	ds_write2st64_b32 v4, v0, v1 offset1:1
	ds_write2st64_b32 v4, v2, v3 offset0:2 offset1:3
	s_waitcnt lgkmcnt(0)
	s_barrier
	s_and_saveexec_b64 s[0:1], vcc
	s_cbranch_execz .LBB2_59
; %bb.57:
	v_lshlrev_b32_e32 v1, 2, v26
	ds_read2st64_b32 v[2:3], v1 offset1:4
	ds_read2st64_b32 v[4:5], v1 offset0:8 offset1:12
	ds_read2st64_b32 v[6:7], v1 offset0:16 offset1:20
	;; [unrolled: 1-line block ×3, first 2 shown]
	v_or_b32_e32 v0, s24, v26
	s_waitcnt lgkmcnt(3)
	v_add_u32_e32 v2, v3, v2
	s_waitcnt lgkmcnt(2)
	v_add3_u32 v2, v2, v4, v5
	s_waitcnt lgkmcnt(1)
	v_add3_u32 v12, v2, v6, v7
	ds_read2st64_b32 v[2:3], v1 offset0:32 offset1:36
	ds_read2st64_b32 v[4:5], v1 offset0:40 offset1:44
	;; [unrolled: 1-line block ×4, first 2 shown]
	s_waitcnt lgkmcnt(4)
	v_add3_u32 v8, v12, v8, v9
	s_waitcnt lgkmcnt(3)
	v_add3_u32 v2, v8, v2, v3
	;; [unrolled: 2-line block ×5, first 2 shown]
	v_cmp_gt_i32_e32 vcc, s12, v0
	ds_write_b32 v1, v2
	s_and_b64 exec, exec, vcc
	s_cbranch_execz .LBB2_59
; %bb.58:
	v_ashrrev_i32_e32 v1, 31, v0
	v_lshl_add_u64 v[0:1], v[0:1], 2, s[10:11]
	global_store_dword v[0:1], v2, off
.LBB2_59:
	s_endpgm
	.section	.rodata,"a",@progbits
	.p2align	6, 0x0
	.amdhsa_kernel _ZN9rocsparseL26prune_dense2csr_nnz_kernelILi64ELi16EdEEviiPKT1_lNS_24const_host_device_scalarIS1_EEPib
		.amdhsa_group_segment_fixed_size 16384
		.amdhsa_private_segment_fixed_size 0
		.amdhsa_kernarg_size 304
		.amdhsa_user_sgpr_count 2
		.amdhsa_user_sgpr_dispatch_ptr 0
		.amdhsa_user_sgpr_queue_ptr 0
		.amdhsa_user_sgpr_kernarg_segment_ptr 1
		.amdhsa_user_sgpr_dispatch_id 0
		.amdhsa_user_sgpr_kernarg_preload_length 0
		.amdhsa_user_sgpr_kernarg_preload_offset 0
		.amdhsa_user_sgpr_private_segment_size 0
		.amdhsa_uses_dynamic_stack 0
		.amdhsa_enable_private_segment 0
		.amdhsa_system_sgpr_workgroup_id_x 1
		.amdhsa_system_sgpr_workgroup_id_y 0
		.amdhsa_system_sgpr_workgroup_id_z 0
		.amdhsa_system_sgpr_workgroup_info 0
		.amdhsa_system_vgpr_workitem_id 1
		.amdhsa_next_free_vgpr 38
		.amdhsa_next_free_sgpr 26
		.amdhsa_accum_offset 40
		.amdhsa_reserve_vcc 1
		.amdhsa_float_round_mode_32 0
		.amdhsa_float_round_mode_16_64 0
		.amdhsa_float_denorm_mode_32 3
		.amdhsa_float_denorm_mode_16_64 3
		.amdhsa_dx10_clamp 1
		.amdhsa_ieee_mode 1
		.amdhsa_fp16_overflow 0
		.amdhsa_tg_split 0
		.amdhsa_exception_fp_ieee_invalid_op 0
		.amdhsa_exception_fp_denorm_src 0
		.amdhsa_exception_fp_ieee_div_zero 0
		.amdhsa_exception_fp_ieee_overflow 0
		.amdhsa_exception_fp_ieee_underflow 0
		.amdhsa_exception_fp_ieee_inexact 0
		.amdhsa_exception_int_div_zero 0
	.end_amdhsa_kernel
	.section	.text._ZN9rocsparseL26prune_dense2csr_nnz_kernelILi64ELi16EdEEviiPKT1_lNS_24const_host_device_scalarIS1_EEPib,"axG",@progbits,_ZN9rocsparseL26prune_dense2csr_nnz_kernelILi64ELi16EdEEviiPKT1_lNS_24const_host_device_scalarIS1_EEPib,comdat
.Lfunc_end2:
	.size	_ZN9rocsparseL26prune_dense2csr_nnz_kernelILi64ELi16EdEEviiPKT1_lNS_24const_host_device_scalarIS1_EEPib, .Lfunc_end2-_ZN9rocsparseL26prune_dense2csr_nnz_kernelILi64ELi16EdEEviiPKT1_lNS_24const_host_device_scalarIS1_EEPib
                                        ; -- End function
	.set _ZN9rocsparseL26prune_dense2csr_nnz_kernelILi64ELi16EdEEviiPKT1_lNS_24const_host_device_scalarIS1_EEPib.num_vgpr, 38
	.set _ZN9rocsparseL26prune_dense2csr_nnz_kernelILi64ELi16EdEEviiPKT1_lNS_24const_host_device_scalarIS1_EEPib.num_agpr, 0
	.set _ZN9rocsparseL26prune_dense2csr_nnz_kernelILi64ELi16EdEEviiPKT1_lNS_24const_host_device_scalarIS1_EEPib.numbered_sgpr, 26
	.set _ZN9rocsparseL26prune_dense2csr_nnz_kernelILi64ELi16EdEEviiPKT1_lNS_24const_host_device_scalarIS1_EEPib.num_named_barrier, 0
	.set _ZN9rocsparseL26prune_dense2csr_nnz_kernelILi64ELi16EdEEviiPKT1_lNS_24const_host_device_scalarIS1_EEPib.private_seg_size, 0
	.set _ZN9rocsparseL26prune_dense2csr_nnz_kernelILi64ELi16EdEEviiPKT1_lNS_24const_host_device_scalarIS1_EEPib.uses_vcc, 1
	.set _ZN9rocsparseL26prune_dense2csr_nnz_kernelILi64ELi16EdEEviiPKT1_lNS_24const_host_device_scalarIS1_EEPib.uses_flat_scratch, 0
	.set _ZN9rocsparseL26prune_dense2csr_nnz_kernelILi64ELi16EdEEviiPKT1_lNS_24const_host_device_scalarIS1_EEPib.has_dyn_sized_stack, 0
	.set _ZN9rocsparseL26prune_dense2csr_nnz_kernelILi64ELi16EdEEviiPKT1_lNS_24const_host_device_scalarIS1_EEPib.has_recursion, 0
	.set _ZN9rocsparseL26prune_dense2csr_nnz_kernelILi64ELi16EdEEviiPKT1_lNS_24const_host_device_scalarIS1_EEPib.has_indirect_call, 0
	.section	.AMDGPU.csdata,"",@progbits
; Kernel info:
; codeLenInByte = 2752
; TotalNumSgprs: 32
; NumVgprs: 38
; NumAgprs: 0
; TotalNumVgprs: 38
; ScratchSize: 0
; MemoryBound: 0
; FloatMode: 240
; IeeeMode: 1
; LDSByteSize: 16384 bytes/workgroup (compile time only)
; SGPRBlocks: 3
; VGPRBlocks: 4
; NumSGPRsForWavesPerEU: 32
; NumVGPRsForWavesPerEU: 38
; AccumOffset: 40
; Occupancy: 8
; WaveLimiterHint : 0
; COMPUTE_PGM_RSRC2:SCRATCH_EN: 0
; COMPUTE_PGM_RSRC2:USER_SGPR: 2
; COMPUTE_PGM_RSRC2:TRAP_HANDLER: 0
; COMPUTE_PGM_RSRC2:TGID_X_EN: 1
; COMPUTE_PGM_RSRC2:TGID_Y_EN: 0
; COMPUTE_PGM_RSRC2:TGID_Z_EN: 0
; COMPUTE_PGM_RSRC2:TIDIG_COMP_CNT: 1
; COMPUTE_PGM_RSRC3_GFX90A:ACCUM_OFFSET: 9
; COMPUTE_PGM_RSRC3_GFX90A:TG_SPLIT: 0
	.section	.text._ZN9rocsparseL22prune_dense2csr_kernelILi16ELi32EfEEv21rocsparse_index_base_iiPKT1_lNS_24const_host_device_scalarIS2_EEPS2_PKiPib,"axG",@progbits,_ZN9rocsparseL22prune_dense2csr_kernelILi16ELi32EfEEv21rocsparse_index_base_iiPKT1_lNS_24const_host_device_scalarIS2_EEPS2_PKiPib,comdat
	.globl	_ZN9rocsparseL22prune_dense2csr_kernelILi16ELi32EfEEv21rocsparse_index_base_iiPKT1_lNS_24const_host_device_scalarIS2_EEPS2_PKiPib ; -- Begin function _ZN9rocsparseL22prune_dense2csr_kernelILi16ELi32EfEEv21rocsparse_index_base_iiPKT1_lNS_24const_host_device_scalarIS2_EEPS2_PKiPib
	.p2align	8
	.type	_ZN9rocsparseL22prune_dense2csr_kernelILi16ELi32EfEEv21rocsparse_index_base_iiPKT1_lNS_24const_host_device_scalarIS2_EEPS2_PKiPib,@function
_ZN9rocsparseL22prune_dense2csr_kernelILi16ELi32EfEEv21rocsparse_index_base_iiPKT1_lNS_24const_host_device_scalarIS2_EEPS2_PKiPib: ; @_ZN9rocsparseL22prune_dense2csr_kernelILi16ELi32EfEEv21rocsparse_index_base_iiPKT1_lNS_24const_host_device_scalarIS2_EEPS2_PKiPib
; %bb.0:
	s_load_dword s3, s[0:1], 0x40
	s_load_dwordx4 s[4:7], s[0:1], 0x18
	s_waitcnt lgkmcnt(0)
	s_bitcmp1_b32 s3, 0
	s_cselect_b64 s[8:9], -1, 0
	s_and_b64 vcc, exec, s[8:9]
	s_cbranch_vccnz .LBB3_2
; %bb.1:
	s_load_dword s6, s[6:7], 0x0
.LBB3_2:
	s_nop 0
	s_load_dwordx4 s[8:11], s[0:1], 0x0
	v_lshrrev_b32_e32 v1, 5, v0
	v_lshl_or_b32 v2, s2, 4, v1
	s_waitcnt lgkmcnt(0)
	v_cmp_gt_i32_e32 vcc, s9, v2
	s_and_saveexec_b64 s[2:3], vcc
	s_cbranch_execz .LBB3_8
; %bb.3:
	v_and_b32_e32 v8, 31, v0
	v_cmp_gt_i32_e32 vcc, s10, v8
	s_and_b64 exec, exec, vcc
	s_cbranch_execz .LBB3_8
; %bb.4:
	s_load_dwordx4 s[12:15], s[0:1], 0x28
	v_ashrrev_i32_e32 v3, 31, v2
	v_lshlrev_b64 v[4:5], 2, v[2:3]
	v_mbcnt_lo_u32_b32 v3, -1, 0
	v_mbcnt_hi_u32_b32 v3, -1, v3
	s_waitcnt lgkmcnt(0)
	v_lshl_add_u64 v[0:1], s[14:15], 0, v[4:5]
	global_load_dword v9, v[0:1], off
	s_load_dwordx2 s[14:15], s[0:1], 0x10
	s_load_dwordx2 s[2:3], s[0:1], 0x38
	v_xor_b32_e32 v0, 31, v8
	v_mad_u64_u32 v[6:7], s[0:1], s4, v8, 0
	v_mov_b32_e32 v1, 0
	v_lshrrev_b32_e64 v2, v0, -1
	v_mov_b32_e32 v0, v7
	s_lshl_b64 s[0:1], s[4:5], 7
	v_mad_u64_u32 v[10:11], s[4:5], s5, v8, v[0:1]
	v_lshlrev_b32_e32 v3, 2, v3
	v_mov_b32_e32 v7, v10
	v_and_b32_e32 v0, 0x100, v3
	v_lshl_add_u64 v[4:5], v[6:7], 2, v[4:5]
	v_or_b32_e32 v3, 0x7c, v0
	s_waitcnt lgkmcnt(0)
	v_lshl_add_u64 v[4:5], s[14:15], 0, v[4:5]
	s_mov_b64 s[4:5], 0
	s_waitcnt vmcnt(0)
	v_subrev_u32_e32 v6, s8, v9
	s_branch .LBB3_6
.LBB3_5:                                ;   in Loop: Header=BB3_6 Depth=1
	s_or_b64 exec, exec, s[14:15]
	ds_bpermute_b32 v0, v3, v0
	v_add_u32_e32 v8, 32, v8
	v_cmp_le_i32_e32 vcc, s10, v8
	s_or_b64 s[4:5], vcc, s[4:5]
	v_lshl_add_u64 v[4:5], v[4:5], 0, s[0:1]
	s_waitcnt lgkmcnt(0)
	v_add_u32_e32 v6, v0, v6
	s_andn2_b64 exec, exec, s[4:5]
	s_cbranch_execz .LBB3_8
.LBB3_6:                                ; =>This Inner Loop Header: Depth=1
	s_barrier
	global_load_dword v9, v[4:5], off
	s_waitcnt vmcnt(0)
	v_cmp_gt_f32_e64 s[16:17], |v9|, s6
	s_nop 1
	v_and_b32_e32 v0, s16, v2
	v_bcnt_u32_b32 v0, v0, 0
	s_and_saveexec_b64 s[14:15], s[16:17]
	s_cbranch_execz .LBB3_5
; %bb.7:                                ;   in Loop: Header=BB3_6 Depth=1
	v_ashrrev_i32_e32 v7, 31, v6
	v_lshl_add_u64 v[10:11], v[6:7], 0, v[0:1]
	v_lshlrev_b64 v[10:11], 2, v[10:11]
	v_lshl_add_u64 v[12:13], s[12:13], 0, v[10:11]
	v_add_u32_e32 v7, s8, v8
	v_lshl_add_u64 v[10:11], s[2:3], 0, v[10:11]
	global_store_dword v[12:13], v9, off offset:-4
	global_store_dword v[10:11], v7, off offset:-4
	s_branch .LBB3_5
.LBB3_8:
	s_endpgm
	.section	.rodata,"a",@progbits
	.p2align	6, 0x0
	.amdhsa_kernel _ZN9rocsparseL22prune_dense2csr_kernelILi16ELi32EfEEv21rocsparse_index_base_iiPKT1_lNS_24const_host_device_scalarIS2_EEPS2_PKiPib
		.amdhsa_group_segment_fixed_size 0
		.amdhsa_private_segment_fixed_size 0
		.amdhsa_kernarg_size 68
		.amdhsa_user_sgpr_count 2
		.amdhsa_user_sgpr_dispatch_ptr 0
		.amdhsa_user_sgpr_queue_ptr 0
		.amdhsa_user_sgpr_kernarg_segment_ptr 1
		.amdhsa_user_sgpr_dispatch_id 0
		.amdhsa_user_sgpr_kernarg_preload_length 0
		.amdhsa_user_sgpr_kernarg_preload_offset 0
		.amdhsa_user_sgpr_private_segment_size 0
		.amdhsa_uses_dynamic_stack 0
		.amdhsa_enable_private_segment 0
		.amdhsa_system_sgpr_workgroup_id_x 1
		.amdhsa_system_sgpr_workgroup_id_y 0
		.amdhsa_system_sgpr_workgroup_id_z 0
		.amdhsa_system_sgpr_workgroup_info 0
		.amdhsa_system_vgpr_workitem_id 0
		.amdhsa_next_free_vgpr 14
		.amdhsa_next_free_sgpr 18
		.amdhsa_accum_offset 16
		.amdhsa_reserve_vcc 1
		.amdhsa_float_round_mode_32 0
		.amdhsa_float_round_mode_16_64 0
		.amdhsa_float_denorm_mode_32 3
		.amdhsa_float_denorm_mode_16_64 3
		.amdhsa_dx10_clamp 1
		.amdhsa_ieee_mode 1
		.amdhsa_fp16_overflow 0
		.amdhsa_tg_split 0
		.amdhsa_exception_fp_ieee_invalid_op 0
		.amdhsa_exception_fp_denorm_src 0
		.amdhsa_exception_fp_ieee_div_zero 0
		.amdhsa_exception_fp_ieee_overflow 0
		.amdhsa_exception_fp_ieee_underflow 0
		.amdhsa_exception_fp_ieee_inexact 0
		.amdhsa_exception_int_div_zero 0
	.end_amdhsa_kernel
	.section	.text._ZN9rocsparseL22prune_dense2csr_kernelILi16ELi32EfEEv21rocsparse_index_base_iiPKT1_lNS_24const_host_device_scalarIS2_EEPS2_PKiPib,"axG",@progbits,_ZN9rocsparseL22prune_dense2csr_kernelILi16ELi32EfEEv21rocsparse_index_base_iiPKT1_lNS_24const_host_device_scalarIS2_EEPS2_PKiPib,comdat
.Lfunc_end3:
	.size	_ZN9rocsparseL22prune_dense2csr_kernelILi16ELi32EfEEv21rocsparse_index_base_iiPKT1_lNS_24const_host_device_scalarIS2_EEPS2_PKiPib, .Lfunc_end3-_ZN9rocsparseL22prune_dense2csr_kernelILi16ELi32EfEEv21rocsparse_index_base_iiPKT1_lNS_24const_host_device_scalarIS2_EEPS2_PKiPib
                                        ; -- End function
	.set _ZN9rocsparseL22prune_dense2csr_kernelILi16ELi32EfEEv21rocsparse_index_base_iiPKT1_lNS_24const_host_device_scalarIS2_EEPS2_PKiPib.num_vgpr, 14
	.set _ZN9rocsparseL22prune_dense2csr_kernelILi16ELi32EfEEv21rocsparse_index_base_iiPKT1_lNS_24const_host_device_scalarIS2_EEPS2_PKiPib.num_agpr, 0
	.set _ZN9rocsparseL22prune_dense2csr_kernelILi16ELi32EfEEv21rocsparse_index_base_iiPKT1_lNS_24const_host_device_scalarIS2_EEPS2_PKiPib.numbered_sgpr, 18
	.set _ZN9rocsparseL22prune_dense2csr_kernelILi16ELi32EfEEv21rocsparse_index_base_iiPKT1_lNS_24const_host_device_scalarIS2_EEPS2_PKiPib.num_named_barrier, 0
	.set _ZN9rocsparseL22prune_dense2csr_kernelILi16ELi32EfEEv21rocsparse_index_base_iiPKT1_lNS_24const_host_device_scalarIS2_EEPS2_PKiPib.private_seg_size, 0
	.set _ZN9rocsparseL22prune_dense2csr_kernelILi16ELi32EfEEv21rocsparse_index_base_iiPKT1_lNS_24const_host_device_scalarIS2_EEPS2_PKiPib.uses_vcc, 1
	.set _ZN9rocsparseL22prune_dense2csr_kernelILi16ELi32EfEEv21rocsparse_index_base_iiPKT1_lNS_24const_host_device_scalarIS2_EEPS2_PKiPib.uses_flat_scratch, 0
	.set _ZN9rocsparseL22prune_dense2csr_kernelILi16ELi32EfEEv21rocsparse_index_base_iiPKT1_lNS_24const_host_device_scalarIS2_EEPS2_PKiPib.has_dyn_sized_stack, 0
	.set _ZN9rocsparseL22prune_dense2csr_kernelILi16ELi32EfEEv21rocsparse_index_base_iiPKT1_lNS_24const_host_device_scalarIS2_EEPS2_PKiPib.has_recursion, 0
	.set _ZN9rocsparseL22prune_dense2csr_kernelILi16ELi32EfEEv21rocsparse_index_base_iiPKT1_lNS_24const_host_device_scalarIS2_EEPS2_PKiPib.has_indirect_call, 0
	.section	.AMDGPU.csdata,"",@progbits
; Kernel info:
; codeLenInByte = 432
; TotalNumSgprs: 24
; NumVgprs: 14
; NumAgprs: 0
; TotalNumVgprs: 14
; ScratchSize: 0
; MemoryBound: 0
; FloatMode: 240
; IeeeMode: 1
; LDSByteSize: 0 bytes/workgroup (compile time only)
; SGPRBlocks: 2
; VGPRBlocks: 1
; NumSGPRsForWavesPerEU: 24
; NumVGPRsForWavesPerEU: 14
; AccumOffset: 16
; Occupancy: 8
; WaveLimiterHint : 0
; COMPUTE_PGM_RSRC2:SCRATCH_EN: 0
; COMPUTE_PGM_RSRC2:USER_SGPR: 2
; COMPUTE_PGM_RSRC2:TRAP_HANDLER: 0
; COMPUTE_PGM_RSRC2:TGID_X_EN: 1
; COMPUTE_PGM_RSRC2:TGID_Y_EN: 0
; COMPUTE_PGM_RSRC2:TGID_Z_EN: 0
; COMPUTE_PGM_RSRC2:TIDIG_COMP_CNT: 0
; COMPUTE_PGM_RSRC3_GFX90A:ACCUM_OFFSET: 3
; COMPUTE_PGM_RSRC3_GFX90A:TG_SPLIT: 0
	.section	.text._ZN9rocsparseL22prune_dense2csr_kernelILi16ELi64EfEEv21rocsparse_index_base_iiPKT1_lNS_24const_host_device_scalarIS2_EEPS2_PKiPib,"axG",@progbits,_ZN9rocsparseL22prune_dense2csr_kernelILi16ELi64EfEEv21rocsparse_index_base_iiPKT1_lNS_24const_host_device_scalarIS2_EEPS2_PKiPib,comdat
	.globl	_ZN9rocsparseL22prune_dense2csr_kernelILi16ELi64EfEEv21rocsparse_index_base_iiPKT1_lNS_24const_host_device_scalarIS2_EEPS2_PKiPib ; -- Begin function _ZN9rocsparseL22prune_dense2csr_kernelILi16ELi64EfEEv21rocsparse_index_base_iiPKT1_lNS_24const_host_device_scalarIS2_EEPS2_PKiPib
	.p2align	8
	.type	_ZN9rocsparseL22prune_dense2csr_kernelILi16ELi64EfEEv21rocsparse_index_base_iiPKT1_lNS_24const_host_device_scalarIS2_EEPS2_PKiPib,@function
_ZN9rocsparseL22prune_dense2csr_kernelILi16ELi64EfEEv21rocsparse_index_base_iiPKT1_lNS_24const_host_device_scalarIS2_EEPS2_PKiPib: ; @_ZN9rocsparseL22prune_dense2csr_kernelILi16ELi64EfEEv21rocsparse_index_base_iiPKT1_lNS_24const_host_device_scalarIS2_EEPS2_PKiPib
; %bb.0:
	s_load_dword s3, s[0:1], 0x40
	s_load_dwordx4 s[4:7], s[0:1], 0x18
	s_waitcnt lgkmcnt(0)
	s_bitcmp1_b32 s3, 0
	s_cselect_b64 s[8:9], -1, 0
	s_and_b64 vcc, exec, s[8:9]
	s_cbranch_vccnz .LBB4_2
; %bb.1:
	s_load_dword s6, s[6:7], 0x0
.LBB4_2:
	s_nop 0
	s_load_dwordx4 s[8:11], s[0:1], 0x0
	v_lshrrev_b32_e32 v1, 6, v0
	v_lshl_or_b32 v2, s2, 4, v1
	s_waitcnt lgkmcnt(0)
	v_cmp_gt_i32_e32 vcc, s9, v2
	s_and_saveexec_b64 s[2:3], vcc
	s_cbranch_execz .LBB4_8
; %bb.3:
	v_and_b32_e32 v8, 63, v0
	v_cmp_gt_i32_e32 vcc, s10, v8
	s_and_b64 exec, exec, vcc
	s_cbranch_execz .LBB4_8
; %bb.4:
	s_load_dwordx4 s[12:15], s[0:1], 0x28
	v_ashrrev_i32_e32 v3, 31, v2
	v_lshlrev_b64 v[2:3], 2, v[2:3]
	v_mbcnt_lo_u32_b32 v6, -1, 0
	v_bfrev_b32_e32 v7, 0.5
	s_waitcnt lgkmcnt(0)
	v_lshl_add_u64 v[0:1], s[14:15], 0, v[2:3]
	global_load_dword v10, v[0:1], off
	s_load_dwordx2 s[16:17], s[0:1], 0x10
	s_load_dwordx2 s[2:3], s[0:1], 0x38
	v_mad_u64_u32 v[4:5], s[0:1], s4, v8, 0
	v_mbcnt_hi_u32_b32 v9, -1, v6
	v_mov_b32_e32 v6, v5
	s_lshl_b64 s[0:1], s[4:5], 8
	v_lshl_or_b32 v9, v9, 2, v7
	v_mad_u64_u32 v[6:7], s[4:5], s5, v8, v[6:7]
	v_mov_b32_e32 v5, v6
	v_xor_b32_e32 v0, 63, v8
	v_lshl_add_u64 v[2:3], v[4:5], 2, v[2:3]
	s_mov_b64 s[14:15], 0
	v_lshrrev_b64 v[0:1], v0, -1
	s_waitcnt lgkmcnt(0)
	v_lshl_add_u64 v[2:3], s[16:17], 0, v[2:3]
	v_mov_b32_e32 v7, 0
	s_waitcnt vmcnt(0)
	v_subrev_u32_e32 v4, s8, v10
	s_branch .LBB4_6
.LBB4_5:                                ;   in Loop: Header=BB4_6 Depth=1
	s_or_b64 exec, exec, s[4:5]
	ds_bpermute_b32 v5, v9, v6
	v_add_u32_e32 v8, 64, v8
	v_cmp_le_i32_e32 vcc, s10, v8
	s_or_b64 s[14:15], vcc, s[14:15]
	v_lshl_add_u64 v[2:3], v[2:3], 0, s[0:1]
	s_waitcnt lgkmcnt(0)
	v_add_u32_e32 v4, v5, v4
	s_andn2_b64 exec, exec, s[14:15]
	s_cbranch_execz .LBB4_8
.LBB4_6:                                ; =>This Inner Loop Header: Depth=1
	s_barrier
	global_load_dword v10, v[2:3], off
	s_waitcnt vmcnt(0)
	v_cmp_gt_f32_e64 s[16:17], |v10|, s6
	s_nop 1
	v_and_b32_e32 v6, s16, v0
	v_and_b32_e32 v5, s17, v1
	v_bcnt_u32_b32 v6, v6, 0
	v_bcnt_u32_b32 v6, v5, v6
	s_and_saveexec_b64 s[4:5], s[16:17]
	s_cbranch_execz .LBB4_5
; %bb.7:                                ;   in Loop: Header=BB4_6 Depth=1
	v_ashrrev_i32_e32 v5, 31, v4
	v_lshl_add_u64 v[12:13], v[4:5], 0, v[6:7]
	v_lshlrev_b64 v[12:13], 2, v[12:13]
	v_lshl_add_u64 v[14:15], s[12:13], 0, v[12:13]
	global_store_dword v[14:15], v10, off offset:-4
	v_add_u32_e32 v5, s8, v8
	v_lshl_add_u64 v[10:11], s[2:3], 0, v[12:13]
	global_store_dword v[10:11], v5, off offset:-4
	s_branch .LBB4_5
.LBB4_8:
	s_endpgm
	.section	.rodata,"a",@progbits
	.p2align	6, 0x0
	.amdhsa_kernel _ZN9rocsparseL22prune_dense2csr_kernelILi16ELi64EfEEv21rocsparse_index_base_iiPKT1_lNS_24const_host_device_scalarIS2_EEPS2_PKiPib
		.amdhsa_group_segment_fixed_size 0
		.amdhsa_private_segment_fixed_size 0
		.amdhsa_kernarg_size 68
		.amdhsa_user_sgpr_count 2
		.amdhsa_user_sgpr_dispatch_ptr 0
		.amdhsa_user_sgpr_queue_ptr 0
		.amdhsa_user_sgpr_kernarg_segment_ptr 1
		.amdhsa_user_sgpr_dispatch_id 0
		.amdhsa_user_sgpr_kernarg_preload_length 0
		.amdhsa_user_sgpr_kernarg_preload_offset 0
		.amdhsa_user_sgpr_private_segment_size 0
		.amdhsa_uses_dynamic_stack 0
		.amdhsa_enable_private_segment 0
		.amdhsa_system_sgpr_workgroup_id_x 1
		.amdhsa_system_sgpr_workgroup_id_y 0
		.amdhsa_system_sgpr_workgroup_id_z 0
		.amdhsa_system_sgpr_workgroup_info 0
		.amdhsa_system_vgpr_workitem_id 0
		.amdhsa_next_free_vgpr 16
		.amdhsa_next_free_sgpr 18
		.amdhsa_accum_offset 16
		.amdhsa_reserve_vcc 1
		.amdhsa_float_round_mode_32 0
		.amdhsa_float_round_mode_16_64 0
		.amdhsa_float_denorm_mode_32 3
		.amdhsa_float_denorm_mode_16_64 3
		.amdhsa_dx10_clamp 1
		.amdhsa_ieee_mode 1
		.amdhsa_fp16_overflow 0
		.amdhsa_tg_split 0
		.amdhsa_exception_fp_ieee_invalid_op 0
		.amdhsa_exception_fp_denorm_src 0
		.amdhsa_exception_fp_ieee_div_zero 0
		.amdhsa_exception_fp_ieee_overflow 0
		.amdhsa_exception_fp_ieee_underflow 0
		.amdhsa_exception_fp_ieee_inexact 0
		.amdhsa_exception_int_div_zero 0
	.end_amdhsa_kernel
	.section	.text._ZN9rocsparseL22prune_dense2csr_kernelILi16ELi64EfEEv21rocsparse_index_base_iiPKT1_lNS_24const_host_device_scalarIS2_EEPS2_PKiPib,"axG",@progbits,_ZN9rocsparseL22prune_dense2csr_kernelILi16ELi64EfEEv21rocsparse_index_base_iiPKT1_lNS_24const_host_device_scalarIS2_EEPS2_PKiPib,comdat
.Lfunc_end4:
	.size	_ZN9rocsparseL22prune_dense2csr_kernelILi16ELi64EfEEv21rocsparse_index_base_iiPKT1_lNS_24const_host_device_scalarIS2_EEPS2_PKiPib, .Lfunc_end4-_ZN9rocsparseL22prune_dense2csr_kernelILi16ELi64EfEEv21rocsparse_index_base_iiPKT1_lNS_24const_host_device_scalarIS2_EEPS2_PKiPib
                                        ; -- End function
	.set _ZN9rocsparseL22prune_dense2csr_kernelILi16ELi64EfEEv21rocsparse_index_base_iiPKT1_lNS_24const_host_device_scalarIS2_EEPS2_PKiPib.num_vgpr, 16
	.set _ZN9rocsparseL22prune_dense2csr_kernelILi16ELi64EfEEv21rocsparse_index_base_iiPKT1_lNS_24const_host_device_scalarIS2_EEPS2_PKiPib.num_agpr, 0
	.set _ZN9rocsparseL22prune_dense2csr_kernelILi16ELi64EfEEv21rocsparse_index_base_iiPKT1_lNS_24const_host_device_scalarIS2_EEPS2_PKiPib.numbered_sgpr, 18
	.set _ZN9rocsparseL22prune_dense2csr_kernelILi16ELi64EfEEv21rocsparse_index_base_iiPKT1_lNS_24const_host_device_scalarIS2_EEPS2_PKiPib.num_named_barrier, 0
	.set _ZN9rocsparseL22prune_dense2csr_kernelILi16ELi64EfEEv21rocsparse_index_base_iiPKT1_lNS_24const_host_device_scalarIS2_EEPS2_PKiPib.private_seg_size, 0
	.set _ZN9rocsparseL22prune_dense2csr_kernelILi16ELi64EfEEv21rocsparse_index_base_iiPKT1_lNS_24const_host_device_scalarIS2_EEPS2_PKiPib.uses_vcc, 1
	.set _ZN9rocsparseL22prune_dense2csr_kernelILi16ELi64EfEEv21rocsparse_index_base_iiPKT1_lNS_24const_host_device_scalarIS2_EEPS2_PKiPib.uses_flat_scratch, 0
	.set _ZN9rocsparseL22prune_dense2csr_kernelILi16ELi64EfEEv21rocsparse_index_base_iiPKT1_lNS_24const_host_device_scalarIS2_EEPS2_PKiPib.has_dyn_sized_stack, 0
	.set _ZN9rocsparseL22prune_dense2csr_kernelILi16ELi64EfEEv21rocsparse_index_base_iiPKT1_lNS_24const_host_device_scalarIS2_EEPS2_PKiPib.has_recursion, 0
	.set _ZN9rocsparseL22prune_dense2csr_kernelILi16ELi64EfEEv21rocsparse_index_base_iiPKT1_lNS_24const_host_device_scalarIS2_EEPS2_PKiPib.has_indirect_call, 0
	.section	.AMDGPU.csdata,"",@progbits
; Kernel info:
; codeLenInByte = 436
; TotalNumSgprs: 24
; NumVgprs: 16
; NumAgprs: 0
; TotalNumVgprs: 16
; ScratchSize: 0
; MemoryBound: 0
; FloatMode: 240
; IeeeMode: 1
; LDSByteSize: 0 bytes/workgroup (compile time only)
; SGPRBlocks: 2
; VGPRBlocks: 1
; NumSGPRsForWavesPerEU: 24
; NumVGPRsForWavesPerEU: 16
; AccumOffset: 16
; Occupancy: 8
; WaveLimiterHint : 0
; COMPUTE_PGM_RSRC2:SCRATCH_EN: 0
; COMPUTE_PGM_RSRC2:USER_SGPR: 2
; COMPUTE_PGM_RSRC2:TRAP_HANDLER: 0
; COMPUTE_PGM_RSRC2:TGID_X_EN: 1
; COMPUTE_PGM_RSRC2:TGID_Y_EN: 0
; COMPUTE_PGM_RSRC2:TGID_Z_EN: 0
; COMPUTE_PGM_RSRC2:TIDIG_COMP_CNT: 0
; COMPUTE_PGM_RSRC3_GFX90A:ACCUM_OFFSET: 3
; COMPUTE_PGM_RSRC3_GFX90A:TG_SPLIT: 0
	.section	.text._ZN9rocsparseL22prune_dense2csr_kernelILi8ELi32EdEEv21rocsparse_index_base_iiPKT1_lNS_24const_host_device_scalarIS2_EEPS2_PKiPib,"axG",@progbits,_ZN9rocsparseL22prune_dense2csr_kernelILi8ELi32EdEEv21rocsparse_index_base_iiPKT1_lNS_24const_host_device_scalarIS2_EEPS2_PKiPib,comdat
	.globl	_ZN9rocsparseL22prune_dense2csr_kernelILi8ELi32EdEEv21rocsparse_index_base_iiPKT1_lNS_24const_host_device_scalarIS2_EEPS2_PKiPib ; -- Begin function _ZN9rocsparseL22prune_dense2csr_kernelILi8ELi32EdEEv21rocsparse_index_base_iiPKT1_lNS_24const_host_device_scalarIS2_EEPS2_PKiPib
	.p2align	8
	.type	_ZN9rocsparseL22prune_dense2csr_kernelILi8ELi32EdEEv21rocsparse_index_base_iiPKT1_lNS_24const_host_device_scalarIS2_EEPS2_PKiPib,@function
_ZN9rocsparseL22prune_dense2csr_kernelILi8ELi32EdEEv21rocsparse_index_base_iiPKT1_lNS_24const_host_device_scalarIS2_EEPS2_PKiPib: ; @_ZN9rocsparseL22prune_dense2csr_kernelILi8ELi32EdEEv21rocsparse_index_base_iiPKT1_lNS_24const_host_device_scalarIS2_EEPS2_PKiPib
; %bb.0:
	s_load_dword s3, s[0:1], 0x40
	s_load_dwordx4 s[12:15], s[0:1], 0x18
	s_waitcnt lgkmcnt(0)
	s_bitcmp1_b32 s3, 0
	s_cselect_b64 s[4:5], -1, 0
	s_and_b64 vcc, exec, s[4:5]
	v_mov_b64_e32 v[2:3], s[14:15]
	s_cbranch_vccnz .LBB5_2
; %bb.1:
	v_mov_b64_e32 v[2:3], s[14:15]
	flat_load_dwordx2 v[2:3], v[2:3]
.LBB5_2:
	s_load_dwordx4 s[4:7], s[0:1], 0x0
	v_lshrrev_b32_e32 v1, 5, v0
	v_lshl_or_b32 v6, s2, 3, v1
	s_waitcnt lgkmcnt(0)
	v_cmp_gt_i32_e32 vcc, s5, v6
	s_and_saveexec_b64 s[2:3], vcc
	s_cbranch_execz .LBB5_8
; %bb.3:
	v_and_b32_e32 v5, 31, v0
	v_cmp_gt_i32_e32 vcc, s6, v5
	s_and_b64 exec, exec, vcc
	s_cbranch_execz .LBB5_8
; %bb.4:
	s_load_dwordx4 s[8:11], s[0:1], 0x28
	s_load_dwordx2 s[14:15], s[0:1], 0x10
	v_ashrrev_i32_e32 v7, 31, v6
	v_mbcnt_lo_u32_b32 v10, -1, 0
	v_mad_u64_u32 v[8:9], s[2:3], s12, v5, 0
	s_waitcnt lgkmcnt(0)
	v_lshl_add_u64 v[0:1], v[6:7], 2, s[10:11]
	global_load_dword v13, v[0:1], off
	v_xor_b32_e32 v0, 31, v5
	s_load_dwordx2 s[0:1], s[0:1], 0x38
	v_mov_b32_e32 v1, 0
	v_lshrrev_b32_e64 v4, v0, -1
	v_mbcnt_hi_u32_b32 v10, -1, v10
	v_mov_b32_e32 v0, v9
	v_lshlrev_b32_e32 v9, 2, v10
	v_mad_u64_u32 v[10:11], s[10:11], s13, v5, v[0:1]
	v_lshlrev_b64 v[6:7], 3, v[6:7]
	v_and_b32_e32 v0, 0x100, v9
	v_mov_b32_e32 v9, v10
	v_lshl_add_u64 v[6:7], v[8:9], 3, v[6:7]
	s_lshl_b64 s[2:3], s[12:13], 8
	v_or_b32_e32 v12, 0x7c, v0
	v_lshl_add_u64 v[6:7], s[14:15], 0, v[6:7]
	s_mov_b64 s[10:11], 0
	s_waitcnt vmcnt(0)
	v_subrev_u32_e32 v8, s4, v13
	s_branch .LBB5_6
.LBB5_5:                                ;   in Loop: Header=BB5_6 Depth=1
	s_or_b64 exec, exec, s[12:13]
	ds_bpermute_b32 v0, v12, v0
	v_add_u32_e32 v5, 32, v5
	v_cmp_le_i32_e32 vcc, s6, v5
	s_or_b64 s[10:11], vcc, s[10:11]
	v_lshl_add_u64 v[6:7], v[6:7], 0, s[2:3]
	s_waitcnt lgkmcnt(0)
	v_add_u32_e32 v8, v0, v8
	s_andn2_b64 exec, exec, s[10:11]
	s_cbranch_execz .LBB5_8
.LBB5_6:                                ; =>This Inner Loop Header: Depth=1
	s_waitcnt lgkmcnt(0)
	s_barrier
	global_load_dwordx2 v[10:11], v[6:7], off
	s_waitcnt vmcnt(0)
	v_cmp_gt_f64_e64 s[14:15], |v[10:11]|, v[2:3]
	s_nop 1
	v_and_b32_e32 v0, s14, v4
	v_bcnt_u32_b32 v0, v0, 0
	s_and_saveexec_b64 s[12:13], s[14:15]
	s_cbranch_execz .LBB5_5
; %bb.7:                                ;   in Loop: Header=BB5_6 Depth=1
	v_ashrrev_i32_e32 v9, 31, v8
	v_lshl_add_u64 v[14:15], v[8:9], 0, v[0:1]
	v_lshl_add_u64 v[16:17], v[14:15], 3, s[8:9]
	global_store_dwordx2 v[16:17], v[10:11], off offset:-8
	v_add_u32_e32 v9, s4, v5
	v_lshl_add_u64 v[10:11], v[14:15], 2, s[0:1]
	global_store_dword v[10:11], v9, off offset:-4
	s_branch .LBB5_5
.LBB5_8:
	s_endpgm
	.section	.rodata,"a",@progbits
	.p2align	6, 0x0
	.amdhsa_kernel _ZN9rocsparseL22prune_dense2csr_kernelILi8ELi32EdEEv21rocsparse_index_base_iiPKT1_lNS_24const_host_device_scalarIS2_EEPS2_PKiPib
		.amdhsa_group_segment_fixed_size 0
		.amdhsa_private_segment_fixed_size 0
		.amdhsa_kernarg_size 68
		.amdhsa_user_sgpr_count 2
		.amdhsa_user_sgpr_dispatch_ptr 0
		.amdhsa_user_sgpr_queue_ptr 0
		.amdhsa_user_sgpr_kernarg_segment_ptr 1
		.amdhsa_user_sgpr_dispatch_id 0
		.amdhsa_user_sgpr_kernarg_preload_length 0
		.amdhsa_user_sgpr_kernarg_preload_offset 0
		.amdhsa_user_sgpr_private_segment_size 0
		.amdhsa_uses_dynamic_stack 0
		.amdhsa_enable_private_segment 0
		.amdhsa_system_sgpr_workgroup_id_x 1
		.amdhsa_system_sgpr_workgroup_id_y 0
		.amdhsa_system_sgpr_workgroup_id_z 0
		.amdhsa_system_sgpr_workgroup_info 0
		.amdhsa_system_vgpr_workitem_id 0
		.amdhsa_next_free_vgpr 18
		.amdhsa_next_free_sgpr 16
		.amdhsa_accum_offset 20
		.amdhsa_reserve_vcc 1
		.amdhsa_float_round_mode_32 0
		.amdhsa_float_round_mode_16_64 0
		.amdhsa_float_denorm_mode_32 3
		.amdhsa_float_denorm_mode_16_64 3
		.amdhsa_dx10_clamp 1
		.amdhsa_ieee_mode 1
		.amdhsa_fp16_overflow 0
		.amdhsa_tg_split 0
		.amdhsa_exception_fp_ieee_invalid_op 0
		.amdhsa_exception_fp_denorm_src 0
		.amdhsa_exception_fp_ieee_div_zero 0
		.amdhsa_exception_fp_ieee_overflow 0
		.amdhsa_exception_fp_ieee_underflow 0
		.amdhsa_exception_fp_ieee_inexact 0
		.amdhsa_exception_int_div_zero 0
	.end_amdhsa_kernel
	.section	.text._ZN9rocsparseL22prune_dense2csr_kernelILi8ELi32EdEEv21rocsparse_index_base_iiPKT1_lNS_24const_host_device_scalarIS2_EEPS2_PKiPib,"axG",@progbits,_ZN9rocsparseL22prune_dense2csr_kernelILi8ELi32EdEEv21rocsparse_index_base_iiPKT1_lNS_24const_host_device_scalarIS2_EEPS2_PKiPib,comdat
.Lfunc_end5:
	.size	_ZN9rocsparseL22prune_dense2csr_kernelILi8ELi32EdEEv21rocsparse_index_base_iiPKT1_lNS_24const_host_device_scalarIS2_EEPS2_PKiPib, .Lfunc_end5-_ZN9rocsparseL22prune_dense2csr_kernelILi8ELi32EdEEv21rocsparse_index_base_iiPKT1_lNS_24const_host_device_scalarIS2_EEPS2_PKiPib
                                        ; -- End function
	.set _ZN9rocsparseL22prune_dense2csr_kernelILi8ELi32EdEEv21rocsparse_index_base_iiPKT1_lNS_24const_host_device_scalarIS2_EEPS2_PKiPib.num_vgpr, 18
	.set _ZN9rocsparseL22prune_dense2csr_kernelILi8ELi32EdEEv21rocsparse_index_base_iiPKT1_lNS_24const_host_device_scalarIS2_EEPS2_PKiPib.num_agpr, 0
	.set _ZN9rocsparseL22prune_dense2csr_kernelILi8ELi32EdEEv21rocsparse_index_base_iiPKT1_lNS_24const_host_device_scalarIS2_EEPS2_PKiPib.numbered_sgpr, 16
	.set _ZN9rocsparseL22prune_dense2csr_kernelILi8ELi32EdEEv21rocsparse_index_base_iiPKT1_lNS_24const_host_device_scalarIS2_EEPS2_PKiPib.num_named_barrier, 0
	.set _ZN9rocsparseL22prune_dense2csr_kernelILi8ELi32EdEEv21rocsparse_index_base_iiPKT1_lNS_24const_host_device_scalarIS2_EEPS2_PKiPib.private_seg_size, 0
	.set _ZN9rocsparseL22prune_dense2csr_kernelILi8ELi32EdEEv21rocsparse_index_base_iiPKT1_lNS_24const_host_device_scalarIS2_EEPS2_PKiPib.uses_vcc, 1
	.set _ZN9rocsparseL22prune_dense2csr_kernelILi8ELi32EdEEv21rocsparse_index_base_iiPKT1_lNS_24const_host_device_scalarIS2_EEPS2_PKiPib.uses_flat_scratch, 0
	.set _ZN9rocsparseL22prune_dense2csr_kernelILi8ELi32EdEEv21rocsparse_index_base_iiPKT1_lNS_24const_host_device_scalarIS2_EEPS2_PKiPib.has_dyn_sized_stack, 0
	.set _ZN9rocsparseL22prune_dense2csr_kernelILi8ELi32EdEEv21rocsparse_index_base_iiPKT1_lNS_24const_host_device_scalarIS2_EEPS2_PKiPib.has_recursion, 0
	.set _ZN9rocsparseL22prune_dense2csr_kernelILi8ELi32EdEEv21rocsparse_index_base_iiPKT1_lNS_24const_host_device_scalarIS2_EEPS2_PKiPib.has_indirect_call, 0
	.section	.AMDGPU.csdata,"",@progbits
; Kernel info:
; codeLenInByte = 428
; TotalNumSgprs: 22
; NumVgprs: 18
; NumAgprs: 0
; TotalNumVgprs: 18
; ScratchSize: 0
; MemoryBound: 0
; FloatMode: 240
; IeeeMode: 1
; LDSByteSize: 0 bytes/workgroup (compile time only)
; SGPRBlocks: 2
; VGPRBlocks: 2
; NumSGPRsForWavesPerEU: 22
; NumVGPRsForWavesPerEU: 18
; AccumOffset: 20
; Occupancy: 8
; WaveLimiterHint : 0
; COMPUTE_PGM_RSRC2:SCRATCH_EN: 0
; COMPUTE_PGM_RSRC2:USER_SGPR: 2
; COMPUTE_PGM_RSRC2:TRAP_HANDLER: 0
; COMPUTE_PGM_RSRC2:TGID_X_EN: 1
; COMPUTE_PGM_RSRC2:TGID_Y_EN: 0
; COMPUTE_PGM_RSRC2:TGID_Z_EN: 0
; COMPUTE_PGM_RSRC2:TIDIG_COMP_CNT: 0
; COMPUTE_PGM_RSRC3_GFX90A:ACCUM_OFFSET: 4
; COMPUTE_PGM_RSRC3_GFX90A:TG_SPLIT: 0
	.section	.text._ZN9rocsparseL22prune_dense2csr_kernelILi8ELi64EdEEv21rocsparse_index_base_iiPKT1_lNS_24const_host_device_scalarIS2_EEPS2_PKiPib,"axG",@progbits,_ZN9rocsparseL22prune_dense2csr_kernelILi8ELi64EdEEv21rocsparse_index_base_iiPKT1_lNS_24const_host_device_scalarIS2_EEPS2_PKiPib,comdat
	.globl	_ZN9rocsparseL22prune_dense2csr_kernelILi8ELi64EdEEv21rocsparse_index_base_iiPKT1_lNS_24const_host_device_scalarIS2_EEPS2_PKiPib ; -- Begin function _ZN9rocsparseL22prune_dense2csr_kernelILi8ELi64EdEEv21rocsparse_index_base_iiPKT1_lNS_24const_host_device_scalarIS2_EEPS2_PKiPib
	.p2align	8
	.type	_ZN9rocsparseL22prune_dense2csr_kernelILi8ELi64EdEEv21rocsparse_index_base_iiPKT1_lNS_24const_host_device_scalarIS2_EEPS2_PKiPib,@function
_ZN9rocsparseL22prune_dense2csr_kernelILi8ELi64EdEEv21rocsparse_index_base_iiPKT1_lNS_24const_host_device_scalarIS2_EEPS2_PKiPib: ; @_ZN9rocsparseL22prune_dense2csr_kernelILi8ELi64EdEEv21rocsparse_index_base_iiPKT1_lNS_24const_host_device_scalarIS2_EEPS2_PKiPib
; %bb.0:
	s_load_dword s3, s[0:1], 0x40
	s_load_dwordx4 s[12:15], s[0:1], 0x18
	s_waitcnt lgkmcnt(0)
	s_bitcmp1_b32 s3, 0
	s_cselect_b64 s[4:5], -1, 0
	s_and_b64 vcc, exec, s[4:5]
	v_mov_b64_e32 v[2:3], s[14:15]
	s_cbranch_vccnz .LBB6_2
; %bb.1:
	v_mov_b64_e32 v[2:3], s[14:15]
	flat_load_dwordx2 v[2:3], v[2:3]
.LBB6_2:
	s_load_dwordx4 s[4:7], s[0:1], 0x0
	v_lshrrev_b32_e32 v1, 6, v0
	v_lshl_or_b32 v4, s2, 3, v1
	s_waitcnt lgkmcnt(0)
	v_cmp_gt_i32_e32 vcc, s5, v4
	s_and_saveexec_b64 s[2:3], vcc
	s_cbranch_execz .LBB6_8
; %bb.3:
	v_and_b32_e32 v12, 63, v0
	v_cmp_gt_i32_e32 vcc, s6, v12
	s_and_b64 exec, exec, vcc
	s_cbranch_execz .LBB6_8
; %bb.4:
	s_load_dwordx4 s[8:11], s[0:1], 0x28
	s_load_dwordx2 s[14:15], s[0:1], 0x10
	v_ashrrev_i32_e32 v5, 31, v4
	v_mbcnt_lo_u32_b32 v8, -1, 0
	v_mad_u64_u32 v[6:7], s[2:3], s12, v12, 0
	s_waitcnt lgkmcnt(0)
	v_lshl_add_u64 v[0:1], v[4:5], 2, s[10:11]
	global_load_dword v10, v[0:1], off
	s_load_dwordx2 s[0:1], s[0:1], 0x38
	v_bfrev_b32_e32 v9, 0.5
	v_mbcnt_hi_u32_b32 v11, -1, v8
	v_mov_b32_e32 v8, v7
	s_lshl_b64 s[2:3], s[12:13], 9
	v_lshl_or_b32 v13, v11, 2, v9
	v_mad_u64_u32 v[8:9], s[12:13], s13, v12, v[8:9]
	v_lshlrev_b64 v[4:5], 3, v[4:5]
	v_mov_b32_e32 v7, v8
	v_xor_b32_e32 v0, 63, v12
	v_lshl_add_u64 v[4:5], v[6:7], 3, v[4:5]
	s_mov_b64 s[10:11], 0
	v_lshrrev_b64 v[0:1], v0, -1
	v_lshl_add_u64 v[4:5], s[14:15], 0, v[4:5]
	v_mov_b32_e32 v9, 0
	s_waitcnt vmcnt(0)
	v_subrev_u32_e32 v6, s4, v10
	s_branch .LBB6_6
.LBB6_5:                                ;   in Loop: Header=BB6_6 Depth=1
	s_or_b64 exec, exec, s[12:13]
	ds_bpermute_b32 v7, v13, v8
	v_add_u32_e32 v12, 64, v12
	v_cmp_le_i32_e32 vcc, s6, v12
	s_or_b64 s[10:11], vcc, s[10:11]
	v_lshl_add_u64 v[4:5], v[4:5], 0, s[2:3]
	s_waitcnt lgkmcnt(0)
	v_add_u32_e32 v6, v7, v6
	s_andn2_b64 exec, exec, s[10:11]
	s_cbranch_execz .LBB6_8
.LBB6_6:                                ; =>This Inner Loop Header: Depth=1
	s_waitcnt lgkmcnt(0)
	s_barrier
	global_load_dwordx2 v[10:11], v[4:5], off
	s_waitcnt vmcnt(0)
	v_cmp_gt_f64_e64 s[14:15], |v[10:11]|, v[2:3]
	s_nop 1
	v_and_b32_e32 v8, s14, v0
	v_and_b32_e32 v7, s15, v1
	v_bcnt_u32_b32 v8, v8, 0
	v_bcnt_u32_b32 v8, v7, v8
	s_and_saveexec_b64 s[12:13], s[14:15]
	s_cbranch_execz .LBB6_5
; %bb.7:                                ;   in Loop: Header=BB6_6 Depth=1
	v_ashrrev_i32_e32 v7, 31, v6
	v_lshl_add_u64 v[14:15], v[6:7], 0, v[8:9]
	v_lshl_add_u64 v[16:17], v[14:15], 3, s[8:9]
	global_store_dwordx2 v[16:17], v[10:11], off offset:-8
	v_add_u32_e32 v7, s4, v12
	v_lshl_add_u64 v[10:11], v[14:15], 2, s[0:1]
	global_store_dword v[10:11], v7, off offset:-4
	s_branch .LBB6_5
.LBB6_8:
	s_endpgm
	.section	.rodata,"a",@progbits
	.p2align	6, 0x0
	.amdhsa_kernel _ZN9rocsparseL22prune_dense2csr_kernelILi8ELi64EdEEv21rocsparse_index_base_iiPKT1_lNS_24const_host_device_scalarIS2_EEPS2_PKiPib
		.amdhsa_group_segment_fixed_size 0
		.amdhsa_private_segment_fixed_size 0
		.amdhsa_kernarg_size 68
		.amdhsa_user_sgpr_count 2
		.amdhsa_user_sgpr_dispatch_ptr 0
		.amdhsa_user_sgpr_queue_ptr 0
		.amdhsa_user_sgpr_kernarg_segment_ptr 1
		.amdhsa_user_sgpr_dispatch_id 0
		.amdhsa_user_sgpr_kernarg_preload_length 0
		.amdhsa_user_sgpr_kernarg_preload_offset 0
		.amdhsa_user_sgpr_private_segment_size 0
		.amdhsa_uses_dynamic_stack 0
		.amdhsa_enable_private_segment 0
		.amdhsa_system_sgpr_workgroup_id_x 1
		.amdhsa_system_sgpr_workgroup_id_y 0
		.amdhsa_system_sgpr_workgroup_id_z 0
		.amdhsa_system_sgpr_workgroup_info 0
		.amdhsa_system_vgpr_workitem_id 0
		.amdhsa_next_free_vgpr 18
		.amdhsa_next_free_sgpr 16
		.amdhsa_accum_offset 20
		.amdhsa_reserve_vcc 1
		.amdhsa_float_round_mode_32 0
		.amdhsa_float_round_mode_16_64 0
		.amdhsa_float_denorm_mode_32 3
		.amdhsa_float_denorm_mode_16_64 3
		.amdhsa_dx10_clamp 1
		.amdhsa_ieee_mode 1
		.amdhsa_fp16_overflow 0
		.amdhsa_tg_split 0
		.amdhsa_exception_fp_ieee_invalid_op 0
		.amdhsa_exception_fp_denorm_src 0
		.amdhsa_exception_fp_ieee_div_zero 0
		.amdhsa_exception_fp_ieee_overflow 0
		.amdhsa_exception_fp_ieee_underflow 0
		.amdhsa_exception_fp_ieee_inexact 0
		.amdhsa_exception_int_div_zero 0
	.end_amdhsa_kernel
	.section	.text._ZN9rocsparseL22prune_dense2csr_kernelILi8ELi64EdEEv21rocsparse_index_base_iiPKT1_lNS_24const_host_device_scalarIS2_EEPS2_PKiPib,"axG",@progbits,_ZN9rocsparseL22prune_dense2csr_kernelILi8ELi64EdEEv21rocsparse_index_base_iiPKT1_lNS_24const_host_device_scalarIS2_EEPS2_PKiPib,comdat
.Lfunc_end6:
	.size	_ZN9rocsparseL22prune_dense2csr_kernelILi8ELi64EdEEv21rocsparse_index_base_iiPKT1_lNS_24const_host_device_scalarIS2_EEPS2_PKiPib, .Lfunc_end6-_ZN9rocsparseL22prune_dense2csr_kernelILi8ELi64EdEEv21rocsparse_index_base_iiPKT1_lNS_24const_host_device_scalarIS2_EEPS2_PKiPib
                                        ; -- End function
	.set _ZN9rocsparseL22prune_dense2csr_kernelILi8ELi64EdEEv21rocsparse_index_base_iiPKT1_lNS_24const_host_device_scalarIS2_EEPS2_PKiPib.num_vgpr, 18
	.set _ZN9rocsparseL22prune_dense2csr_kernelILi8ELi64EdEEv21rocsparse_index_base_iiPKT1_lNS_24const_host_device_scalarIS2_EEPS2_PKiPib.num_agpr, 0
	.set _ZN9rocsparseL22prune_dense2csr_kernelILi8ELi64EdEEv21rocsparse_index_base_iiPKT1_lNS_24const_host_device_scalarIS2_EEPS2_PKiPib.numbered_sgpr, 16
	.set _ZN9rocsparseL22prune_dense2csr_kernelILi8ELi64EdEEv21rocsparse_index_base_iiPKT1_lNS_24const_host_device_scalarIS2_EEPS2_PKiPib.num_named_barrier, 0
	.set _ZN9rocsparseL22prune_dense2csr_kernelILi8ELi64EdEEv21rocsparse_index_base_iiPKT1_lNS_24const_host_device_scalarIS2_EEPS2_PKiPib.private_seg_size, 0
	.set _ZN9rocsparseL22prune_dense2csr_kernelILi8ELi64EdEEv21rocsparse_index_base_iiPKT1_lNS_24const_host_device_scalarIS2_EEPS2_PKiPib.uses_vcc, 1
	.set _ZN9rocsparseL22prune_dense2csr_kernelILi8ELi64EdEEv21rocsparse_index_base_iiPKT1_lNS_24const_host_device_scalarIS2_EEPS2_PKiPib.uses_flat_scratch, 0
	.set _ZN9rocsparseL22prune_dense2csr_kernelILi8ELi64EdEEv21rocsparse_index_base_iiPKT1_lNS_24const_host_device_scalarIS2_EEPS2_PKiPib.has_dyn_sized_stack, 0
	.set _ZN9rocsparseL22prune_dense2csr_kernelILi8ELi64EdEEv21rocsparse_index_base_iiPKT1_lNS_24const_host_device_scalarIS2_EEPS2_PKiPib.has_recursion, 0
	.set _ZN9rocsparseL22prune_dense2csr_kernelILi8ELi64EdEEv21rocsparse_index_base_iiPKT1_lNS_24const_host_device_scalarIS2_EEPS2_PKiPib.has_indirect_call, 0
	.section	.AMDGPU.csdata,"",@progbits
; Kernel info:
; codeLenInByte = 432
; TotalNumSgprs: 22
; NumVgprs: 18
; NumAgprs: 0
; TotalNumVgprs: 18
; ScratchSize: 0
; MemoryBound: 0
; FloatMode: 240
; IeeeMode: 1
; LDSByteSize: 0 bytes/workgroup (compile time only)
; SGPRBlocks: 2
; VGPRBlocks: 2
; NumSGPRsForWavesPerEU: 22
; NumVGPRsForWavesPerEU: 18
; AccumOffset: 20
; Occupancy: 8
; WaveLimiterHint : 0
; COMPUTE_PGM_RSRC2:SCRATCH_EN: 0
; COMPUTE_PGM_RSRC2:USER_SGPR: 2
; COMPUTE_PGM_RSRC2:TRAP_HANDLER: 0
; COMPUTE_PGM_RSRC2:TGID_X_EN: 1
; COMPUTE_PGM_RSRC2:TGID_Y_EN: 0
; COMPUTE_PGM_RSRC2:TGID_Z_EN: 0
; COMPUTE_PGM_RSRC2:TIDIG_COMP_CNT: 0
; COMPUTE_PGM_RSRC3_GFX90A:ACCUM_OFFSET: 4
; COMPUTE_PGM_RSRC3_GFX90A:TG_SPLIT: 0
	.section	.AMDGPU.gpr_maximums,"",@progbits
	.set amdgpu.max_num_vgpr, 0
	.set amdgpu.max_num_agpr, 0
	.set amdgpu.max_num_sgpr, 0
	.section	.AMDGPU.csdata,"",@progbits
	.type	__hip_cuid_d5217af94f657d70,@object ; @__hip_cuid_d5217af94f657d70
	.section	.bss,"aw",@nobits
	.globl	__hip_cuid_d5217af94f657d70
__hip_cuid_d5217af94f657d70:
	.byte	0                               ; 0x0
	.size	__hip_cuid_d5217af94f657d70, 1

	.ident	"AMD clang version 22.0.0git (https://github.com/RadeonOpenCompute/llvm-project roc-7.2.4 26084 f58b06dce1f9c15707c5f808fd002e18c2accf7e)"
	.section	".note.GNU-stack","",@progbits
	.addrsig
	.addrsig_sym __hip_cuid_d5217af94f657d70
	.amdgpu_metadata
---
amdhsa.kernels:
  - .agpr_count:     0
    .args:
      - .offset:         0
        .size:           4
        .value_kind:     by_value
      - .actual_access:  read_only
        .address_space:  global
        .offset:         8
        .size:           8
        .value_kind:     global_buffer
      - .actual_access:  write_only
        .address_space:  global
        .offset:         16
        .size:           8
        .value_kind:     global_buffer
    .group_segment_fixed_size: 0
    .kernarg_segment_align: 8
    .kernarg_segment_size: 24
    .language:       OpenCL C
    .language_version:
      - 2
      - 0
    .max_flat_workgroup_size: 1
    .name:           _ZN9rocsparseL23nnz_total_device_kernelEiPKiPi
    .private_segment_fixed_size: 0
    .sgpr_count:     14
    .sgpr_spill_count: 0
    .symbol:         _ZN9rocsparseL23nnz_total_device_kernelEiPKiPi.kd
    .uniform_work_group_size: 1
    .uses_dynamic_stack: false
    .vgpr_count:     2
    .vgpr_spill_count: 0
    .wavefront_size: 64
  - .agpr_count:     0
    .args:
      - .offset:         0
        .size:           4
        .value_kind:     by_value
      - .offset:         4
        .size:           4
        .value_kind:     by_value
      - .actual_access:  read_only
        .address_space:  global
        .offset:         8
        .size:           8
        .value_kind:     global_buffer
      - .offset:         16
        .size:           8
        .value_kind:     by_value
      - .offset:         24
        .size:           8
        .value_kind:     by_value
      - .actual_access:  write_only
        .address_space:  global
        .offset:         32
        .size:           8
        .value_kind:     global_buffer
      - .offset:         40
        .size:           1
        .value_kind:     by_value
      - .offset:         48
        .size:           4
        .value_kind:     hidden_block_count_x
      - .offset:         52
        .size:           4
        .value_kind:     hidden_block_count_y
      - .offset:         56
        .size:           4
        .value_kind:     hidden_block_count_z
      - .offset:         60
        .size:           2
        .value_kind:     hidden_group_size_x
      - .offset:         62
        .size:           2
        .value_kind:     hidden_group_size_y
      - .offset:         64
        .size:           2
        .value_kind:     hidden_group_size_z
      - .offset:         66
        .size:           2
        .value_kind:     hidden_remainder_x
      - .offset:         68
        .size:           2
        .value_kind:     hidden_remainder_y
      - .offset:         70
        .size:           2
        .value_kind:     hidden_remainder_z
      - .offset:         88
        .size:           8
        .value_kind:     hidden_global_offset_x
      - .offset:         96
        .size:           8
        .value_kind:     hidden_global_offset_y
      - .offset:         104
        .size:           8
        .value_kind:     hidden_global_offset_z
      - .offset:         112
        .size:           2
        .value_kind:     hidden_grid_dims
    .group_segment_fixed_size: 16384
    .kernarg_segment_align: 8
    .kernarg_segment_size: 304
    .language:       OpenCL C
    .language_version:
      - 2
      - 0
    .max_flat_workgroup_size: 1024
    .name:           _ZN9rocsparseL26prune_dense2csr_nnz_kernelILi64ELi16EfEEviiPKT1_lNS_24const_host_device_scalarIS1_EEPib
    .private_segment_fixed_size: 0
    .sgpr_count:     33
    .sgpr_spill_count: 0
    .symbol:         _ZN9rocsparseL26prune_dense2csr_nnz_kernelILi64ELi16EfEEviiPKT1_lNS_24const_host_device_scalarIS1_EEPib.kd
    .uniform_work_group_size: 1
    .uses_dynamic_stack: false
    .vgpr_count:     31
    .vgpr_spill_count: 0
    .wavefront_size: 64
  - .agpr_count:     0
    .args:
      - .offset:         0
        .size:           4
        .value_kind:     by_value
      - .offset:         4
        .size:           4
        .value_kind:     by_value
      - .actual_access:  read_only
        .address_space:  global
        .offset:         8
        .size:           8
        .value_kind:     global_buffer
      - .offset:         16
        .size:           8
        .value_kind:     by_value
      - .offset:         24
        .size:           8
        .value_kind:     by_value
      - .actual_access:  write_only
        .address_space:  global
        .offset:         32
        .size:           8
        .value_kind:     global_buffer
      - .offset:         40
        .size:           1
        .value_kind:     by_value
      - .offset:         48
        .size:           4
        .value_kind:     hidden_block_count_x
      - .offset:         52
        .size:           4
        .value_kind:     hidden_block_count_y
      - .offset:         56
        .size:           4
        .value_kind:     hidden_block_count_z
      - .offset:         60
        .size:           2
        .value_kind:     hidden_group_size_x
      - .offset:         62
        .size:           2
        .value_kind:     hidden_group_size_y
      - .offset:         64
        .size:           2
        .value_kind:     hidden_group_size_z
      - .offset:         66
        .size:           2
        .value_kind:     hidden_remainder_x
      - .offset:         68
        .size:           2
        .value_kind:     hidden_remainder_y
      - .offset:         70
        .size:           2
        .value_kind:     hidden_remainder_z
      - .offset:         88
        .size:           8
        .value_kind:     hidden_global_offset_x
      - .offset:         96
        .size:           8
        .value_kind:     hidden_global_offset_y
      - .offset:         104
        .size:           8
        .value_kind:     hidden_global_offset_z
      - .offset:         112
        .size:           2
        .value_kind:     hidden_grid_dims
    .group_segment_fixed_size: 16384
    .kernarg_segment_align: 8
    .kernarg_segment_size: 304
    .language:       OpenCL C
    .language_version:
      - 2
      - 0
    .max_flat_workgroup_size: 1024
    .name:           _ZN9rocsparseL26prune_dense2csr_nnz_kernelILi64ELi16EdEEviiPKT1_lNS_24const_host_device_scalarIS1_EEPib
    .private_segment_fixed_size: 0
    .sgpr_count:     32
    .sgpr_spill_count: 0
    .symbol:         _ZN9rocsparseL26prune_dense2csr_nnz_kernelILi64ELi16EdEEviiPKT1_lNS_24const_host_device_scalarIS1_EEPib.kd
    .uniform_work_group_size: 1
    .uses_dynamic_stack: false
    .vgpr_count:     38
    .vgpr_spill_count: 0
    .wavefront_size: 64
  - .agpr_count:     0
    .args:
      - .offset:         0
        .size:           4
        .value_kind:     by_value
      - .offset:         4
        .size:           4
        .value_kind:     by_value
      - .offset:         8
        .size:           4
        .value_kind:     by_value
      - .actual_access:  read_only
        .address_space:  global
        .offset:         16
        .size:           8
        .value_kind:     global_buffer
      - .offset:         24
        .size:           8
        .value_kind:     by_value
      - .offset:         32
        .size:           8
        .value_kind:     by_value
      - .actual_access:  write_only
        .address_space:  global
        .offset:         40
        .size:           8
        .value_kind:     global_buffer
      - .actual_access:  read_only
        .address_space:  global
        .offset:         48
        .size:           8
        .value_kind:     global_buffer
      - .actual_access:  write_only
        .address_space:  global
        .offset:         56
        .size:           8
        .value_kind:     global_buffer
      - .offset:         64
        .size:           1
        .value_kind:     by_value
    .group_segment_fixed_size: 0
    .kernarg_segment_align: 8
    .kernarg_segment_size: 68
    .language:       OpenCL C
    .language_version:
      - 2
      - 0
    .max_flat_workgroup_size: 512
    .name:           _ZN9rocsparseL22prune_dense2csr_kernelILi16ELi32EfEEv21rocsparse_index_base_iiPKT1_lNS_24const_host_device_scalarIS2_EEPS2_PKiPib
    .private_segment_fixed_size: 0
    .sgpr_count:     24
    .sgpr_spill_count: 0
    .symbol:         _ZN9rocsparseL22prune_dense2csr_kernelILi16ELi32EfEEv21rocsparse_index_base_iiPKT1_lNS_24const_host_device_scalarIS2_EEPS2_PKiPib.kd
    .uniform_work_group_size: 1
    .uses_dynamic_stack: false
    .vgpr_count:     14
    .vgpr_spill_count: 0
    .wavefront_size: 64
  - .agpr_count:     0
    .args:
      - .offset:         0
        .size:           4
        .value_kind:     by_value
      - .offset:         4
        .size:           4
        .value_kind:     by_value
      - .offset:         8
        .size:           4
        .value_kind:     by_value
      - .actual_access:  read_only
        .address_space:  global
        .offset:         16
        .size:           8
        .value_kind:     global_buffer
      - .offset:         24
        .size:           8
        .value_kind:     by_value
      - .offset:         32
        .size:           8
        .value_kind:     by_value
      - .actual_access:  write_only
        .address_space:  global
        .offset:         40
        .size:           8
        .value_kind:     global_buffer
      - .actual_access:  read_only
        .address_space:  global
        .offset:         48
        .size:           8
        .value_kind:     global_buffer
      - .actual_access:  write_only
        .address_space:  global
        .offset:         56
        .size:           8
        .value_kind:     global_buffer
      - .offset:         64
        .size:           1
        .value_kind:     by_value
    .group_segment_fixed_size: 0
    .kernarg_segment_align: 8
    .kernarg_segment_size: 68
    .language:       OpenCL C
    .language_version:
      - 2
      - 0
    .max_flat_workgroup_size: 1024
    .name:           _ZN9rocsparseL22prune_dense2csr_kernelILi16ELi64EfEEv21rocsparse_index_base_iiPKT1_lNS_24const_host_device_scalarIS2_EEPS2_PKiPib
    .private_segment_fixed_size: 0
    .sgpr_count:     24
    .sgpr_spill_count: 0
    .symbol:         _ZN9rocsparseL22prune_dense2csr_kernelILi16ELi64EfEEv21rocsparse_index_base_iiPKT1_lNS_24const_host_device_scalarIS2_EEPS2_PKiPib.kd
    .uniform_work_group_size: 1
    .uses_dynamic_stack: false
    .vgpr_count:     16
    .vgpr_spill_count: 0
    .wavefront_size: 64
  - .agpr_count:     0
    .args:
      - .offset:         0
        .size:           4
        .value_kind:     by_value
      - .offset:         4
        .size:           4
        .value_kind:     by_value
      - .offset:         8
        .size:           4
        .value_kind:     by_value
      - .actual_access:  read_only
        .address_space:  global
        .offset:         16
        .size:           8
        .value_kind:     global_buffer
      - .offset:         24
        .size:           8
        .value_kind:     by_value
      - .offset:         32
        .size:           8
        .value_kind:     by_value
      - .actual_access:  write_only
        .address_space:  global
        .offset:         40
        .size:           8
        .value_kind:     global_buffer
      - .actual_access:  read_only
        .address_space:  global
        .offset:         48
        .size:           8
        .value_kind:     global_buffer
      - .actual_access:  write_only
        .address_space:  global
        .offset:         56
        .size:           8
        .value_kind:     global_buffer
      - .offset:         64
        .size:           1
        .value_kind:     by_value
    .group_segment_fixed_size: 0
    .kernarg_segment_align: 8
    .kernarg_segment_size: 68
    .language:       OpenCL C
    .language_version:
      - 2
      - 0
    .max_flat_workgroup_size: 256
    .name:           _ZN9rocsparseL22prune_dense2csr_kernelILi8ELi32EdEEv21rocsparse_index_base_iiPKT1_lNS_24const_host_device_scalarIS2_EEPS2_PKiPib
    .private_segment_fixed_size: 0
    .sgpr_count:     22
    .sgpr_spill_count: 0
    .symbol:         _ZN9rocsparseL22prune_dense2csr_kernelILi8ELi32EdEEv21rocsparse_index_base_iiPKT1_lNS_24const_host_device_scalarIS2_EEPS2_PKiPib.kd
    .uniform_work_group_size: 1
    .uses_dynamic_stack: false
    .vgpr_count:     18
    .vgpr_spill_count: 0
    .wavefront_size: 64
  - .agpr_count:     0
    .args:
      - .offset:         0
        .size:           4
        .value_kind:     by_value
      - .offset:         4
        .size:           4
        .value_kind:     by_value
      - .offset:         8
        .size:           4
        .value_kind:     by_value
      - .actual_access:  read_only
        .address_space:  global
        .offset:         16
        .size:           8
        .value_kind:     global_buffer
      - .offset:         24
        .size:           8
        .value_kind:     by_value
      - .offset:         32
        .size:           8
        .value_kind:     by_value
      - .actual_access:  write_only
        .address_space:  global
        .offset:         40
        .size:           8
        .value_kind:     global_buffer
      - .actual_access:  read_only
        .address_space:  global
        .offset:         48
        .size:           8
        .value_kind:     global_buffer
      - .actual_access:  write_only
        .address_space:  global
        .offset:         56
        .size:           8
        .value_kind:     global_buffer
      - .offset:         64
        .size:           1
        .value_kind:     by_value
    .group_segment_fixed_size: 0
    .kernarg_segment_align: 8
    .kernarg_segment_size: 68
    .language:       OpenCL C
    .language_version:
      - 2
      - 0
    .max_flat_workgroup_size: 512
    .name:           _ZN9rocsparseL22prune_dense2csr_kernelILi8ELi64EdEEv21rocsparse_index_base_iiPKT1_lNS_24const_host_device_scalarIS2_EEPS2_PKiPib
    .private_segment_fixed_size: 0
    .sgpr_count:     22
    .sgpr_spill_count: 0
    .symbol:         _ZN9rocsparseL22prune_dense2csr_kernelILi8ELi64EdEEv21rocsparse_index_base_iiPKT1_lNS_24const_host_device_scalarIS2_EEPS2_PKiPib.kd
    .uniform_work_group_size: 1
    .uses_dynamic_stack: false
    .vgpr_count:     18
    .vgpr_spill_count: 0
    .wavefront_size: 64
amdhsa.target:   amdgcn-amd-amdhsa--gfx950
amdhsa.version:
  - 1
  - 2
...

	.end_amdgpu_metadata
